;; amdgpu-corpus repo=ROCm/rocFFT kind=compiled arch=gfx1100 opt=O3
	.text
	.amdgcn_target "amdgcn-amd-amdhsa--gfx1100"
	.amdhsa_code_object_version 6
	.protected	fft_rtc_fwd_len2700_factors_3_10_10_3_3_wgs_90_tpt_90_halfLds_dp_ip_CI_unitstride_sbrr_C2R_dirReg ; -- Begin function fft_rtc_fwd_len2700_factors_3_10_10_3_3_wgs_90_tpt_90_halfLds_dp_ip_CI_unitstride_sbrr_C2R_dirReg
	.globl	fft_rtc_fwd_len2700_factors_3_10_10_3_3_wgs_90_tpt_90_halfLds_dp_ip_CI_unitstride_sbrr_C2R_dirReg
	.p2align	8
	.type	fft_rtc_fwd_len2700_factors_3_10_10_3_3_wgs_90_tpt_90_halfLds_dp_ip_CI_unitstride_sbrr_C2R_dirReg,@function
fft_rtc_fwd_len2700_factors_3_10_10_3_3_wgs_90_tpt_90_halfLds_dp_ip_CI_unitstride_sbrr_C2R_dirReg: ; @fft_rtc_fwd_len2700_factors_3_10_10_3_3_wgs_90_tpt_90_halfLds_dp_ip_CI_unitstride_sbrr_C2R_dirReg
; %bb.0:
	s_clause 0x2
	s_load_b128 s[4:7], s[0:1], 0x0
	s_load_b64 s[8:9], s[0:1], 0x50
	s_load_b64 s[10:11], s[0:1], 0x18
	v_mul_u32_u24_e32 v1, 0x2d9, v0
	v_mov_b32_e32 v3, 0
	v_mov_b32_e32 v4, 0
	s_delay_alu instid0(VALU_DEP_3) | instskip(SKIP_1) | instid1(VALU_DEP_1)
	v_lshrrev_b32_e32 v2, 16, v1
	v_mov_b32_e32 v1, 0
	v_dual_mov_b32 v6, v1 :: v_dual_add_nc_u32 v5, s15, v2
	s_waitcnt lgkmcnt(0)
	v_cmp_lt_u64_e64 s2, s[6:7], 2
	s_delay_alu instid0(VALU_DEP_1)
	s_and_b32 vcc_lo, exec_lo, s2
	s_cbranch_vccnz .LBB0_8
; %bb.1:
	s_load_b64 s[2:3], s[0:1], 0x10
	v_mov_b32_e32 v3, 0
	s_add_u32 s12, s10, 8
	v_mov_b32_e32 v4, 0
	s_addc_u32 s13, s11, 0
	s_mov_b64 s[16:17], 1
	s_waitcnt lgkmcnt(0)
	s_add_u32 s14, s2, 8
	s_addc_u32 s15, s3, 0
.LBB0_2:                                ; =>This Inner Loop Header: Depth=1
	s_load_b64 s[18:19], s[14:15], 0x0
                                        ; implicit-def: $vgpr7_vgpr8
	s_mov_b32 s2, exec_lo
	s_waitcnt lgkmcnt(0)
	v_or_b32_e32 v2, s19, v6
	s_delay_alu instid0(VALU_DEP_1)
	v_cmpx_ne_u64_e32 0, v[1:2]
	s_xor_b32 s3, exec_lo, s2
	s_cbranch_execz .LBB0_4
; %bb.3:                                ;   in Loop: Header=BB0_2 Depth=1
	v_cvt_f32_u32_e32 v2, s18
	v_cvt_f32_u32_e32 v7, s19
	s_sub_u32 s2, 0, s18
	s_subb_u32 s20, 0, s19
	s_delay_alu instid0(VALU_DEP_1) | instskip(NEXT) | instid1(VALU_DEP_1)
	v_fmac_f32_e32 v2, 0x4f800000, v7
	v_rcp_f32_e32 v2, v2
	s_waitcnt_depctr 0xfff
	v_mul_f32_e32 v2, 0x5f7ffffc, v2
	s_delay_alu instid0(VALU_DEP_1) | instskip(NEXT) | instid1(VALU_DEP_1)
	v_mul_f32_e32 v7, 0x2f800000, v2
	v_trunc_f32_e32 v7, v7
	s_delay_alu instid0(VALU_DEP_1) | instskip(SKIP_1) | instid1(VALU_DEP_2)
	v_fmac_f32_e32 v2, 0xcf800000, v7
	v_cvt_u32_f32_e32 v7, v7
	v_cvt_u32_f32_e32 v2, v2
	s_delay_alu instid0(VALU_DEP_2) | instskip(NEXT) | instid1(VALU_DEP_2)
	v_mul_lo_u32 v8, s2, v7
	v_mul_hi_u32 v9, s2, v2
	v_mul_lo_u32 v10, s20, v2
	s_delay_alu instid0(VALU_DEP_2) | instskip(SKIP_1) | instid1(VALU_DEP_2)
	v_add_nc_u32_e32 v8, v9, v8
	v_mul_lo_u32 v9, s2, v2
	v_add_nc_u32_e32 v8, v8, v10
	s_delay_alu instid0(VALU_DEP_2) | instskip(NEXT) | instid1(VALU_DEP_2)
	v_mul_hi_u32 v10, v2, v9
	v_mul_lo_u32 v11, v2, v8
	v_mul_hi_u32 v12, v2, v8
	v_mul_hi_u32 v13, v7, v9
	v_mul_lo_u32 v9, v7, v9
	v_mul_hi_u32 v14, v7, v8
	v_mul_lo_u32 v8, v7, v8
	v_add_co_u32 v10, vcc_lo, v10, v11
	v_add_co_ci_u32_e32 v11, vcc_lo, 0, v12, vcc_lo
	s_delay_alu instid0(VALU_DEP_2) | instskip(NEXT) | instid1(VALU_DEP_2)
	v_add_co_u32 v9, vcc_lo, v10, v9
	v_add_co_ci_u32_e32 v9, vcc_lo, v11, v13, vcc_lo
	v_add_co_ci_u32_e32 v10, vcc_lo, 0, v14, vcc_lo
	s_delay_alu instid0(VALU_DEP_2) | instskip(NEXT) | instid1(VALU_DEP_2)
	v_add_co_u32 v8, vcc_lo, v9, v8
	v_add_co_ci_u32_e32 v9, vcc_lo, 0, v10, vcc_lo
	s_delay_alu instid0(VALU_DEP_2) | instskip(NEXT) | instid1(VALU_DEP_2)
	v_add_co_u32 v2, vcc_lo, v2, v8
	v_add_co_ci_u32_e32 v7, vcc_lo, v7, v9, vcc_lo
	s_delay_alu instid0(VALU_DEP_2) | instskip(SKIP_1) | instid1(VALU_DEP_3)
	v_mul_hi_u32 v8, s2, v2
	v_mul_lo_u32 v10, s20, v2
	v_mul_lo_u32 v9, s2, v7
	s_delay_alu instid0(VALU_DEP_1) | instskip(SKIP_1) | instid1(VALU_DEP_2)
	v_add_nc_u32_e32 v8, v8, v9
	v_mul_lo_u32 v9, s2, v2
	v_add_nc_u32_e32 v8, v8, v10
	s_delay_alu instid0(VALU_DEP_2) | instskip(NEXT) | instid1(VALU_DEP_2)
	v_mul_hi_u32 v10, v2, v9
	v_mul_lo_u32 v11, v2, v8
	v_mul_hi_u32 v12, v2, v8
	v_mul_hi_u32 v13, v7, v9
	v_mul_lo_u32 v9, v7, v9
	v_mul_hi_u32 v14, v7, v8
	v_mul_lo_u32 v8, v7, v8
	v_add_co_u32 v10, vcc_lo, v10, v11
	v_add_co_ci_u32_e32 v11, vcc_lo, 0, v12, vcc_lo
	s_delay_alu instid0(VALU_DEP_2) | instskip(NEXT) | instid1(VALU_DEP_2)
	v_add_co_u32 v9, vcc_lo, v10, v9
	v_add_co_ci_u32_e32 v9, vcc_lo, v11, v13, vcc_lo
	v_add_co_ci_u32_e32 v10, vcc_lo, 0, v14, vcc_lo
	s_delay_alu instid0(VALU_DEP_2) | instskip(NEXT) | instid1(VALU_DEP_2)
	v_add_co_u32 v8, vcc_lo, v9, v8
	v_add_co_ci_u32_e32 v9, vcc_lo, 0, v10, vcc_lo
	s_delay_alu instid0(VALU_DEP_2) | instskip(NEXT) | instid1(VALU_DEP_2)
	v_add_co_u32 v2, vcc_lo, v2, v8
	v_add_co_ci_u32_e32 v13, vcc_lo, v7, v9, vcc_lo
	s_delay_alu instid0(VALU_DEP_2) | instskip(SKIP_1) | instid1(VALU_DEP_3)
	v_mul_hi_u32 v14, v5, v2
	v_mad_u64_u32 v[9:10], null, v6, v2, 0
	v_mad_u64_u32 v[7:8], null, v5, v13, 0
	;; [unrolled: 1-line block ×3, first 2 shown]
	s_delay_alu instid0(VALU_DEP_2) | instskip(NEXT) | instid1(VALU_DEP_3)
	v_add_co_u32 v2, vcc_lo, v14, v7
	v_add_co_ci_u32_e32 v7, vcc_lo, 0, v8, vcc_lo
	s_delay_alu instid0(VALU_DEP_2) | instskip(NEXT) | instid1(VALU_DEP_2)
	v_add_co_u32 v2, vcc_lo, v2, v9
	v_add_co_ci_u32_e32 v2, vcc_lo, v7, v10, vcc_lo
	v_add_co_ci_u32_e32 v7, vcc_lo, 0, v12, vcc_lo
	s_delay_alu instid0(VALU_DEP_2) | instskip(NEXT) | instid1(VALU_DEP_2)
	v_add_co_u32 v2, vcc_lo, v2, v11
	v_add_co_ci_u32_e32 v9, vcc_lo, 0, v7, vcc_lo
	s_delay_alu instid0(VALU_DEP_2) | instskip(SKIP_1) | instid1(VALU_DEP_3)
	v_mul_lo_u32 v10, s19, v2
	v_mad_u64_u32 v[7:8], null, s18, v2, 0
	v_mul_lo_u32 v11, s18, v9
	s_delay_alu instid0(VALU_DEP_2) | instskip(NEXT) | instid1(VALU_DEP_2)
	v_sub_co_u32 v7, vcc_lo, v5, v7
	v_add3_u32 v8, v8, v11, v10
	s_delay_alu instid0(VALU_DEP_1) | instskip(NEXT) | instid1(VALU_DEP_1)
	v_sub_nc_u32_e32 v10, v6, v8
	v_subrev_co_ci_u32_e64 v10, s2, s19, v10, vcc_lo
	v_add_co_u32 v11, s2, v2, 2
	s_delay_alu instid0(VALU_DEP_1) | instskip(SKIP_3) | instid1(VALU_DEP_3)
	v_add_co_ci_u32_e64 v12, s2, 0, v9, s2
	v_sub_co_u32 v13, s2, v7, s18
	v_sub_co_ci_u32_e32 v8, vcc_lo, v6, v8, vcc_lo
	v_subrev_co_ci_u32_e64 v10, s2, 0, v10, s2
	v_cmp_le_u32_e32 vcc_lo, s18, v13
	s_delay_alu instid0(VALU_DEP_3) | instskip(SKIP_1) | instid1(VALU_DEP_4)
	v_cmp_eq_u32_e64 s2, s19, v8
	v_cndmask_b32_e64 v13, 0, -1, vcc_lo
	v_cmp_le_u32_e32 vcc_lo, s19, v10
	v_cndmask_b32_e64 v14, 0, -1, vcc_lo
	v_cmp_le_u32_e32 vcc_lo, s18, v7
	;; [unrolled: 2-line block ×3, first 2 shown]
	v_cndmask_b32_e64 v15, 0, -1, vcc_lo
	v_cmp_eq_u32_e32 vcc_lo, s19, v10
	s_delay_alu instid0(VALU_DEP_2) | instskip(SKIP_3) | instid1(VALU_DEP_3)
	v_cndmask_b32_e64 v7, v15, v7, s2
	v_cndmask_b32_e32 v10, v14, v13, vcc_lo
	v_add_co_u32 v13, vcc_lo, v2, 1
	v_add_co_ci_u32_e32 v14, vcc_lo, 0, v9, vcc_lo
	v_cmp_ne_u32_e32 vcc_lo, 0, v10
	s_delay_alu instid0(VALU_DEP_2) | instskip(NEXT) | instid1(VALU_DEP_4)
	v_cndmask_b32_e32 v8, v14, v12, vcc_lo
	v_cndmask_b32_e32 v10, v13, v11, vcc_lo
	v_cmp_ne_u32_e32 vcc_lo, 0, v7
	s_delay_alu instid0(VALU_DEP_2)
	v_dual_cndmask_b32 v7, v2, v10 :: v_dual_cndmask_b32 v8, v9, v8
.LBB0_4:                                ;   in Loop: Header=BB0_2 Depth=1
	s_and_not1_saveexec_b32 s2, s3
	s_cbranch_execz .LBB0_6
; %bb.5:                                ;   in Loop: Header=BB0_2 Depth=1
	v_cvt_f32_u32_e32 v2, s18
	s_sub_i32 s3, 0, s18
	s_delay_alu instid0(VALU_DEP_1) | instskip(SKIP_2) | instid1(VALU_DEP_1)
	v_rcp_iflag_f32_e32 v2, v2
	s_waitcnt_depctr 0xfff
	v_mul_f32_e32 v2, 0x4f7ffffe, v2
	v_cvt_u32_f32_e32 v2, v2
	s_delay_alu instid0(VALU_DEP_1) | instskip(NEXT) | instid1(VALU_DEP_1)
	v_mul_lo_u32 v7, s3, v2
	v_mul_hi_u32 v7, v2, v7
	s_delay_alu instid0(VALU_DEP_1) | instskip(NEXT) | instid1(VALU_DEP_1)
	v_add_nc_u32_e32 v2, v2, v7
	v_mul_hi_u32 v2, v5, v2
	s_delay_alu instid0(VALU_DEP_1) | instskip(SKIP_1) | instid1(VALU_DEP_2)
	v_mul_lo_u32 v7, v2, s18
	v_add_nc_u32_e32 v8, 1, v2
	v_sub_nc_u32_e32 v7, v5, v7
	s_delay_alu instid0(VALU_DEP_1) | instskip(SKIP_1) | instid1(VALU_DEP_2)
	v_subrev_nc_u32_e32 v9, s18, v7
	v_cmp_le_u32_e32 vcc_lo, s18, v7
	v_dual_cndmask_b32 v7, v7, v9 :: v_dual_cndmask_b32 v2, v2, v8
	s_delay_alu instid0(VALU_DEP_1) | instskip(NEXT) | instid1(VALU_DEP_2)
	v_cmp_le_u32_e32 vcc_lo, s18, v7
	v_add_nc_u32_e32 v8, 1, v2
	s_delay_alu instid0(VALU_DEP_1)
	v_dual_cndmask_b32 v7, v2, v8 :: v_dual_mov_b32 v8, v1
.LBB0_6:                                ;   in Loop: Header=BB0_2 Depth=1
	s_or_b32 exec_lo, exec_lo, s2
	s_load_b64 s[2:3], s[12:13], 0x0
	s_delay_alu instid0(VALU_DEP_1) | instskip(NEXT) | instid1(VALU_DEP_2)
	v_mul_lo_u32 v2, v8, s18
	v_mul_lo_u32 v11, v7, s19
	v_mad_u64_u32 v[9:10], null, v7, s18, 0
	s_add_u32 s16, s16, 1
	s_addc_u32 s17, s17, 0
	s_add_u32 s12, s12, 8
	s_addc_u32 s13, s13, 0
	;; [unrolled: 2-line block ×3, first 2 shown]
	s_delay_alu instid0(VALU_DEP_1) | instskip(SKIP_1) | instid1(VALU_DEP_2)
	v_add3_u32 v2, v10, v11, v2
	v_sub_co_u32 v9, vcc_lo, v5, v9
	v_sub_co_ci_u32_e32 v2, vcc_lo, v6, v2, vcc_lo
	s_waitcnt lgkmcnt(0)
	s_delay_alu instid0(VALU_DEP_2) | instskip(NEXT) | instid1(VALU_DEP_2)
	v_mul_lo_u32 v10, s3, v9
	v_mul_lo_u32 v2, s2, v2
	v_mad_u64_u32 v[5:6], null, s2, v9, v[3:4]
	v_cmp_ge_u64_e64 s2, s[16:17], s[6:7]
	s_delay_alu instid0(VALU_DEP_1) | instskip(NEXT) | instid1(VALU_DEP_2)
	s_and_b32 vcc_lo, exec_lo, s2
	v_add3_u32 v4, v10, v6, v2
	s_delay_alu instid0(VALU_DEP_3)
	v_mov_b32_e32 v3, v5
	s_cbranch_vccnz .LBB0_9
; %bb.7:                                ;   in Loop: Header=BB0_2 Depth=1
	v_dual_mov_b32 v5, v7 :: v_dual_mov_b32 v6, v8
	s_branch .LBB0_2
.LBB0_8:
	v_dual_mov_b32 v8, v6 :: v_dual_mov_b32 v7, v5
.LBB0_9:
	s_lshl_b64 s[2:3], s[6:7], 3
	s_delay_alu instid0(SALU_CYCLE_1)
	s_add_u32 s2, s10, s2
	s_addc_u32 s3, s11, s3
	s_load_b64 s[2:3], s[2:3], 0x0
	s_load_b64 s[0:1], s[0:1], 0x20
	s_waitcnt lgkmcnt(0)
	v_mul_lo_u32 v5, s2, v8
	v_mul_lo_u32 v6, s3, v7
	v_mad_u64_u32 v[1:2], null, s2, v7, v[3:4]
	v_mul_hi_u32 v3, 0x2d82d83, v0
	v_cmp_gt_u64_e32 vcc_lo, s[0:1], v[7:8]
	s_delay_alu instid0(VALU_DEP_3) | instskip(NEXT) | instid1(VALU_DEP_3)
	v_add3_u32 v2, v6, v2, v5
	v_mul_u32_u24_e32 v3, 0x5a, v3
	s_delay_alu instid0(VALU_DEP_2) | instskip(NEXT) | instid1(VALU_DEP_2)
	v_lshlrev_b64 v[1:2], 4, v[1:2]
	v_sub_nc_u32_e32 v123, v0, v3
	scratch_store_b64 off, v[1:2], off offset:8 ; 8-byte Folded Spill
	s_and_saveexec_b32 s1, vcc_lo
	s_cbranch_execz .LBB0_13
; %bb.10:
	scratch_load_b64 v[0:1], off, off offset:8 ; 8-byte Folded Reload
	v_mov_b32_e32 v124, 0
	v_lshl_add_u32 v122, v123, 4, 0
	s_delay_alu instid0(VALU_DEP_2) | instskip(SKIP_2) | instid1(VALU_DEP_1)
	v_lshlrev_b64 v[2:3], 4, v[123:124]
	s_waitcnt vmcnt(0)
	v_add_co_u32 v0, s0, s8, v0
	v_add_co_ci_u32_e64 v1, s0, s9, v1, s0
	s_delay_alu instid0(VALU_DEP_2) | instskip(NEXT) | instid1(VALU_DEP_1)
	v_add_co_u32 v114, s0, v0, v2
	v_add_co_ci_u32_e64 v115, s0, v1, v3, s0
	s_delay_alu instid0(VALU_DEP_2) | instskip(NEXT) | instid1(VALU_DEP_1)
	v_add_co_u32 v18, s0, 0x1000, v114
	v_add_co_ci_u32_e64 v19, s0, 0, v115, s0
	v_add_co_u32 v30, s0, 0x2000, v114
	s_delay_alu instid0(VALU_DEP_1) | instskip(SKIP_1) | instid1(VALU_DEP_1)
	v_add_co_ci_u32_e64 v31, s0, 0, v115, s0
	v_add_co_u32 v42, s0, 0x3000, v114
	v_add_co_ci_u32_e64 v43, s0, 0, v115, s0
	v_add_co_u32 v54, s0, 0x4000, v114
	s_delay_alu instid0(VALU_DEP_1) | instskip(SKIP_1) | instid1(VALU_DEP_1)
	v_add_co_ci_u32_e64 v55, s0, 0, v115, s0
	;; [unrolled: 5-line block ×4, first 2 shown]
	v_add_co_u32 v110, s0, 0x9000, v114
	v_add_co_ci_u32_e64 v111, s0, 0, v115, s0
	v_add_co_u32 v118, s0, 0xa000, v114
	s_delay_alu instid0(VALU_DEP_1)
	v_add_co_ci_u32_e64 v119, s0, 0, v115, s0
	s_clause 0x1d
	global_load_b128 v[2:5], v[114:115], off offset:1440
	global_load_b128 v[6:9], v[114:115], off offset:2880
	;; [unrolled: 1-line block ×28, first 2 shown]
	global_load_b128 v[114:117], v[114:115], off
	global_load_b128 v[118:121], v[118:119], off offset:800
	v_cmp_eq_u32_e64 s0, 0x59, v123
	s_waitcnt vmcnt(29)
	ds_store_b128 v122, v[2:5] offset:1440
	s_waitcnt vmcnt(28)
	ds_store_b128 v122, v[6:9] offset:2880
	s_waitcnt vmcnt(27)
	ds_store_b128 v122, v[10:13] offset:4320
	s_waitcnt vmcnt(26)
	ds_store_b128 v122, v[14:17] offset:5760
	s_waitcnt vmcnt(25)
	ds_store_b128 v122, v[18:21] offset:7200
	s_waitcnt vmcnt(24)
	ds_store_b128 v122, v[22:25] offset:8640
	s_waitcnt vmcnt(23)
	ds_store_b128 v122, v[26:29] offset:10080
	s_waitcnt vmcnt(22)
	ds_store_b128 v122, v[30:33] offset:11520
	s_waitcnt vmcnt(21)
	ds_store_b128 v122, v[34:37] offset:12960
	s_waitcnt vmcnt(20)
	ds_store_b128 v122, v[38:41] offset:14400
	s_waitcnt vmcnt(19)
	ds_store_b128 v122, v[42:45] offset:15840
	s_waitcnt vmcnt(18)
	ds_store_b128 v122, v[46:49] offset:17280
	s_waitcnt vmcnt(17)
	ds_store_b128 v122, v[50:53] offset:18720
	s_waitcnt vmcnt(16)
	ds_store_b128 v122, v[54:57] offset:20160
	s_waitcnt vmcnt(15)
	ds_store_b128 v122, v[58:61] offset:21600
	s_waitcnt vmcnt(14)
	ds_store_b128 v122, v[62:65] offset:23040
	s_waitcnt vmcnt(13)
	ds_store_b128 v122, v[66:69] offset:24480
	s_waitcnt vmcnt(12)
	ds_store_b128 v122, v[70:73] offset:25920
	s_waitcnt vmcnt(11)
	ds_store_b128 v122, v[74:77] offset:27360
	s_waitcnt vmcnt(10)
	ds_store_b128 v122, v[78:81] offset:28800
	s_waitcnt vmcnt(9)
	ds_store_b128 v122, v[82:85] offset:30240
	s_waitcnt vmcnt(8)
	ds_store_b128 v122, v[86:89] offset:31680
	s_waitcnt vmcnt(7)
	ds_store_b128 v122, v[90:93] offset:33120
	s_waitcnt vmcnt(6)
	ds_store_b128 v122, v[94:97] offset:34560
	s_waitcnt vmcnt(5)
	ds_store_b128 v122, v[98:101] offset:36000
	s_waitcnt vmcnt(4)
	ds_store_b128 v122, v[102:105] offset:37440
	s_waitcnt vmcnt(3)
	ds_store_b128 v122, v[106:109] offset:38880
	s_waitcnt vmcnt(2)
	ds_store_b128 v122, v[110:113] offset:40320
	s_waitcnt vmcnt(1)
	ds_store_b128 v122, v[114:117]
	s_waitcnt vmcnt(0)
	ds_store_b128 v122, v[118:121] offset:41760
	s_and_saveexec_b32 s2, s0
	s_cbranch_execz .LBB0_12
; %bb.11:
	v_add_co_u32 v0, s0, 0xa000, v0
	s_delay_alu instid0(VALU_DEP_1)
	v_add_co_ci_u32_e64 v1, s0, 0, v1, s0
	v_mov_b32_e32 v123, 0x59
	global_load_b128 v[0:3], v[0:1], off offset:2240
	s_waitcnt vmcnt(0)
	ds_store_b128 v124, v[0:3] offset:43200
.LBB0_12:
	s_or_b32 exec_lo, exec_lo, s2
.LBB0_13:
	s_delay_alu instid0(SALU_CYCLE_1)
	s_or_b32 exec_lo, exec_lo, s1
	v_lshlrev_b32_e32 v0, 4, v123
	s_waitcnt lgkmcnt(0)
	s_waitcnt_vscnt null, 0x0
	s_barrier
	buffer_gl0_inv
	s_add_u32 s1, s4, 0xa890
	v_add_nc_u32_e32 v143, 0, v0
	v_sub_nc_u32_e32 v10, 0, v0
	s_addc_u32 s2, s5, 0
	s_mov_b32 s3, exec_lo
                                        ; implicit-def: $vgpr4_vgpr5
	ds_load_b64 v[6:7], v143
	ds_load_b64 v[8:9], v10 offset:43200
	s_waitcnt lgkmcnt(0)
	v_add_f64 v[0:1], v[6:7], v[8:9]
	v_add_f64 v[2:3], v[6:7], -v[8:9]
	v_cmpx_ne_u32_e32 0, v123
	s_xor_b32 s3, exec_lo, s3
	s_cbranch_execz .LBB0_15
; %bb.14:
	v_mov_b32_e32 v124, 0
	v_add_f64 v[13:14], v[6:7], v[8:9]
	v_add_f64 v[15:16], v[6:7], -v[8:9]
	s_delay_alu instid0(VALU_DEP_3) | instskip(NEXT) | instid1(VALU_DEP_1)
	v_lshlrev_b64 v[0:1], 4, v[123:124]
	v_add_co_u32 v0, s0, s1, v0
	s_delay_alu instid0(VALU_DEP_1)
	v_add_co_ci_u32_e64 v1, s0, s2, v1, s0
	global_load_b128 v[2:5], v[0:1], off
	ds_load_b64 v[0:1], v10 offset:43208
	ds_load_b64 v[11:12], v143 offset:8
	s_waitcnt lgkmcnt(0)
	v_add_f64 v[6:7], v[0:1], v[11:12]
	v_add_f64 v[0:1], v[11:12], -v[0:1]
	s_waitcnt vmcnt(0)
	v_fma_f64 v[8:9], v[15:16], v[4:5], v[13:14]
	v_fma_f64 v[11:12], -v[15:16], v[4:5], v[13:14]
	s_delay_alu instid0(VALU_DEP_3) | instskip(SKIP_1) | instid1(VALU_DEP_4)
	v_fma_f64 v[13:14], v[6:7], v[4:5], -v[0:1]
	v_fma_f64 v[4:5], v[6:7], v[4:5], v[0:1]
	v_fma_f64 v[0:1], -v[6:7], v[2:3], v[8:9]
	s_delay_alu instid0(VALU_DEP_4) | instskip(NEXT) | instid1(VALU_DEP_4)
	v_fma_f64 v[6:7], v[6:7], v[2:3], v[11:12]
	v_fma_f64 v[8:9], v[15:16], v[2:3], v[13:14]
	s_delay_alu instid0(VALU_DEP_4)
	v_fma_f64 v[2:3], v[15:16], v[2:3], v[4:5]
	v_dual_mov_b32 v4, v123 :: v_dual_mov_b32 v5, v124
	ds_store_b128 v10, v[6:9] offset:43200
.LBB0_15:
	s_and_not1_saveexec_b32 s0, s3
	s_cbranch_execz .LBB0_17
; %bb.16:
	v_mov_b32_e32 v8, 0
	ds_load_b128 v[4:7], v8 offset:21600
	s_waitcnt lgkmcnt(0)
	v_add_f64 v[11:12], v[4:5], v[4:5]
	v_mul_f64 v[13:14], v[6:7], -2.0
	v_mov_b32_e32 v4, 0
	v_mov_b32_e32 v5, 0
	ds_store_b128 v8, v[11:14] offset:21600
.LBB0_17:
	s_or_b32 exec_lo, exec_lo, s0
	v_lshlrev_b64 v[4:5], 4, v[4:5]
	v_and_b32_e32 v118, 0xff, v123
	s_mov_b32 s7, 0xbfebb67a
	s_mov_b32 s10, 0x134454ff
	;; [unrolled: 1-line block ×4, first 2 shown]
	v_add_co_u32 v4, s0, s1, v4
	s_delay_alu instid0(VALU_DEP_1) | instskip(SKIP_1) | instid1(VALU_DEP_2)
	v_add_co_ci_u32_e64 v5, s0, s2, v5, s0
	s_mov_b32 s2, 0xe8584caa
	v_add_co_u32 v23, s0, 0x1000, v4
	s_clause 0x1
	global_load_b128 v[6:9], v[4:5], off offset:1440
	global_load_b128 v[11:14], v[4:5], off offset:2880
	ds_store_b128 v143, v[0:3]
	ds_load_b128 v[0:3], v143 offset:1440
	ds_load_b128 v[15:18], v10 offset:41760
	v_add_co_ci_u32_e64 v24, s0, 0, v5, s0
	s_mov_b32 s3, 0x3febb67a
	s_mov_b32 s6, s2
	;; [unrolled: 1-line block ×3, first 2 shown]
	global_load_b128 v[19:22], v[23:24], off offset:224
	s_mov_b32 s12, 0x4755a5e
	s_mov_b32 s13, 0x3fe2cf23
	;; [unrolled: 1-line block ×8, first 2 shown]
	s_waitcnt lgkmcnt(0)
	v_add_f64 v[25:26], v[0:1], v[15:16]
	v_add_f64 v[27:28], v[17:18], v[2:3]
	v_add_f64 v[29:30], v[0:1], -v[15:16]
	v_add_f64 v[0:1], v[2:3], -v[17:18]
	s_waitcnt vmcnt(2)
	s_delay_alu instid0(VALU_DEP_2) | instskip(NEXT) | instid1(VALU_DEP_2)
	v_fma_f64 v[2:3], v[29:30], v[8:9], v[25:26]
	v_fma_f64 v[15:16], v[27:28], v[8:9], v[0:1]
	v_fma_f64 v[17:18], -v[29:30], v[8:9], v[25:26]
	v_fma_f64 v[8:9], v[27:28], v[8:9], -v[0:1]
	s_delay_alu instid0(VALU_DEP_4) | instskip(NEXT) | instid1(VALU_DEP_4)
	v_fma_f64 v[0:1], -v[27:28], v[6:7], v[2:3]
	v_fma_f64 v[2:3], v[29:30], v[6:7], v[15:16]
	s_delay_alu instid0(VALU_DEP_4) | instskip(NEXT) | instid1(VALU_DEP_4)
	v_fma_f64 v[15:16], v[27:28], v[6:7], v[17:18]
	v_fma_f64 v[17:18], v[29:30], v[6:7], v[8:9]
	ds_store_b128 v143, v[0:3] offset:1440
	ds_store_b128 v10, v[15:18] offset:41760
	ds_load_b128 v[0:3], v143 offset:2880
	ds_load_b128 v[6:9], v10 offset:40320
	global_load_b128 v[15:18], v[23:24], off offset:1664
	s_waitcnt lgkmcnt(0)
	v_add_f64 v[25:26], v[0:1], v[6:7]
	v_add_f64 v[27:28], v[8:9], v[2:3]
	v_add_f64 v[29:30], v[0:1], -v[6:7]
	v_add_f64 v[0:1], v[2:3], -v[8:9]
	s_waitcnt vmcnt(2)
	s_delay_alu instid0(VALU_DEP_2) | instskip(NEXT) | instid1(VALU_DEP_2)
	v_fma_f64 v[2:3], v[29:30], v[13:14], v[25:26]
	v_fma_f64 v[6:7], v[27:28], v[13:14], v[0:1]
	v_fma_f64 v[8:9], -v[29:30], v[13:14], v[25:26]
	v_fma_f64 v[13:14], v[27:28], v[13:14], -v[0:1]
	s_delay_alu instid0(VALU_DEP_4) | instskip(NEXT) | instid1(VALU_DEP_4)
	v_fma_f64 v[0:1], -v[27:28], v[11:12], v[2:3]
	v_fma_f64 v[2:3], v[29:30], v[11:12], v[6:7]
	s_delay_alu instid0(VALU_DEP_4) | instskip(NEXT) | instid1(VALU_DEP_4)
	v_fma_f64 v[6:7], v[27:28], v[11:12], v[8:9]
	v_fma_f64 v[8:9], v[29:30], v[11:12], v[13:14]
	ds_store_b128 v143, v[0:3] offset:2880
	ds_store_b128 v10, v[6:9] offset:40320
	ds_load_b128 v[0:3], v143 offset:4320
	ds_load_b128 v[6:9], v10 offset:38880
	global_load_b128 v[11:14], v[23:24], off offset:3104
	s_waitcnt lgkmcnt(0)
	v_add_f64 v[23:24], v[0:1], v[6:7]
	v_add_f64 v[25:26], v[8:9], v[2:3]
	v_add_f64 v[27:28], v[0:1], -v[6:7]
	v_add_f64 v[0:1], v[2:3], -v[8:9]
	s_waitcnt vmcnt(2)
	s_delay_alu instid0(VALU_DEP_2) | instskip(NEXT) | instid1(VALU_DEP_2)
	v_fma_f64 v[2:3], v[27:28], v[21:22], v[23:24]
	v_fma_f64 v[6:7], v[25:26], v[21:22], v[0:1]
	v_fma_f64 v[8:9], -v[27:28], v[21:22], v[23:24]
	v_fma_f64 v[21:22], v[25:26], v[21:22], -v[0:1]
	v_add_co_u32 v23, s0, 0x2000, v4
	s_delay_alu instid0(VALU_DEP_1)
	v_add_co_ci_u32_e64 v24, s0, 0, v5, s0
	v_fma_f64 v[0:1], -v[25:26], v[19:20], v[2:3]
	v_fma_f64 v[2:3], v[27:28], v[19:20], v[6:7]
	v_fma_f64 v[6:7], v[25:26], v[19:20], v[8:9]
	;; [unrolled: 1-line block ×3, first 2 shown]
	ds_store_b128 v143, v[0:3] offset:4320
	ds_store_b128 v10, v[6:9] offset:38880
	ds_load_b128 v[0:3], v143 offset:5760
	ds_load_b128 v[6:9], v10 offset:37440
	global_load_b128 v[19:22], v[23:24], off offset:448
	s_waitcnt lgkmcnt(0)
	v_add_f64 v[25:26], v[0:1], v[6:7]
	v_add_f64 v[27:28], v[8:9], v[2:3]
	v_add_f64 v[29:30], v[0:1], -v[6:7]
	v_add_f64 v[0:1], v[2:3], -v[8:9]
	s_waitcnt vmcnt(2)
	s_delay_alu instid0(VALU_DEP_2) | instskip(NEXT) | instid1(VALU_DEP_2)
	v_fma_f64 v[2:3], v[29:30], v[17:18], v[25:26]
	v_fma_f64 v[6:7], v[27:28], v[17:18], v[0:1]
	v_fma_f64 v[8:9], -v[29:30], v[17:18], v[25:26]
	v_fma_f64 v[17:18], v[27:28], v[17:18], -v[0:1]
	s_delay_alu instid0(VALU_DEP_4) | instskip(NEXT) | instid1(VALU_DEP_4)
	v_fma_f64 v[0:1], -v[27:28], v[15:16], v[2:3]
	v_fma_f64 v[2:3], v[29:30], v[15:16], v[6:7]
	s_delay_alu instid0(VALU_DEP_4) | instskip(NEXT) | instid1(VALU_DEP_4)
	v_fma_f64 v[6:7], v[27:28], v[15:16], v[8:9]
	v_fma_f64 v[8:9], v[29:30], v[15:16], v[17:18]
	ds_store_b128 v143, v[0:3] offset:5760
	ds_store_b128 v10, v[6:9] offset:37440
	ds_load_b128 v[0:3], v143 offset:7200
	ds_load_b128 v[6:9], v10 offset:36000
	global_load_b128 v[15:18], v[23:24], off offset:1888
	s_waitcnt lgkmcnt(0)
	v_add_f64 v[25:26], v[0:1], v[6:7]
	v_add_f64 v[27:28], v[8:9], v[2:3]
	v_add_f64 v[29:30], v[0:1], -v[6:7]
	v_add_f64 v[0:1], v[2:3], -v[8:9]
	s_waitcnt vmcnt(2)
	s_delay_alu instid0(VALU_DEP_2) | instskip(NEXT) | instid1(VALU_DEP_2)
	v_fma_f64 v[2:3], v[29:30], v[13:14], v[25:26]
	v_fma_f64 v[6:7], v[27:28], v[13:14], v[0:1]
	v_fma_f64 v[8:9], -v[29:30], v[13:14], v[25:26]
	v_fma_f64 v[13:14], v[27:28], v[13:14], -v[0:1]
	s_delay_alu instid0(VALU_DEP_4) | instskip(NEXT) | instid1(VALU_DEP_4)
	v_fma_f64 v[0:1], -v[27:28], v[11:12], v[2:3]
	v_fma_f64 v[2:3], v[29:30], v[11:12], v[6:7]
	s_delay_alu instid0(VALU_DEP_4) | instskip(NEXT) | instid1(VALU_DEP_4)
	v_fma_f64 v[6:7], v[27:28], v[11:12], v[8:9]
	v_fma_f64 v[8:9], v[29:30], v[11:12], v[13:14]
	ds_store_b128 v143, v[0:3] offset:7200
	ds_store_b128 v10, v[6:9] offset:36000
	ds_load_b128 v[0:3], v143 offset:8640
	ds_load_b128 v[6:9], v10 offset:34560
	global_load_b128 v[11:14], v[23:24], off offset:3328
	s_waitcnt lgkmcnt(0)
	v_add_f64 v[23:24], v[0:1], v[6:7]
	v_add_f64 v[25:26], v[8:9], v[2:3]
	v_add_f64 v[27:28], v[0:1], -v[6:7]
	v_add_f64 v[0:1], v[2:3], -v[8:9]
	s_waitcnt vmcnt(2)
	s_delay_alu instid0(VALU_DEP_2) | instskip(NEXT) | instid1(VALU_DEP_2)
	v_fma_f64 v[2:3], v[27:28], v[21:22], v[23:24]
	v_fma_f64 v[6:7], v[25:26], v[21:22], v[0:1]
	v_fma_f64 v[8:9], -v[27:28], v[21:22], v[23:24]
	v_fma_f64 v[21:22], v[25:26], v[21:22], -v[0:1]
	v_add_co_u32 v23, s0, 0x3000, v4
	s_delay_alu instid0(VALU_DEP_1)
	v_add_co_ci_u32_e64 v24, s0, 0, v5, s0
	v_fma_f64 v[0:1], -v[25:26], v[19:20], v[2:3]
	v_fma_f64 v[2:3], v[27:28], v[19:20], v[6:7]
	v_fma_f64 v[6:7], v[25:26], v[19:20], v[8:9]
	v_fma_f64 v[8:9], v[27:28], v[19:20], v[21:22]
	ds_store_b128 v143, v[0:3] offset:8640
	ds_store_b128 v10, v[6:9] offset:34560
	ds_load_b128 v[0:3], v143 offset:10080
	ds_load_b128 v[6:9], v10 offset:33120
	global_load_b128 v[19:22], v[23:24], off offset:672
	s_waitcnt lgkmcnt(0)
	v_add_f64 v[25:26], v[0:1], v[6:7]
	v_add_f64 v[27:28], v[8:9], v[2:3]
	v_add_f64 v[29:30], v[0:1], -v[6:7]
	v_add_f64 v[0:1], v[2:3], -v[8:9]
	s_waitcnt vmcnt(2)
	s_delay_alu instid0(VALU_DEP_2) | instskip(NEXT) | instid1(VALU_DEP_2)
	v_fma_f64 v[2:3], v[29:30], v[17:18], v[25:26]
	v_fma_f64 v[6:7], v[27:28], v[17:18], v[0:1]
	v_fma_f64 v[8:9], -v[29:30], v[17:18], v[25:26]
	v_fma_f64 v[17:18], v[27:28], v[17:18], -v[0:1]
	s_delay_alu instid0(VALU_DEP_4) | instskip(NEXT) | instid1(VALU_DEP_4)
	v_fma_f64 v[0:1], -v[27:28], v[15:16], v[2:3]
	v_fma_f64 v[2:3], v[29:30], v[15:16], v[6:7]
	s_delay_alu instid0(VALU_DEP_4) | instskip(NEXT) | instid1(VALU_DEP_4)
	v_fma_f64 v[6:7], v[27:28], v[15:16], v[8:9]
	v_fma_f64 v[8:9], v[29:30], v[15:16], v[17:18]
	ds_store_b128 v143, v[0:3] offset:10080
	ds_store_b128 v10, v[6:9] offset:33120
	ds_load_b128 v[0:3], v143 offset:11520
	ds_load_b128 v[6:9], v10 offset:31680
	global_load_b128 v[15:18], v[23:24], off offset:2112
	s_waitcnt lgkmcnt(0)
	v_add_f64 v[25:26], v[0:1], v[6:7]
	v_add_f64 v[27:28], v[8:9], v[2:3]
	v_add_f64 v[29:30], v[0:1], -v[6:7]
	v_add_f64 v[0:1], v[2:3], -v[8:9]
	s_waitcnt vmcnt(2)
	s_delay_alu instid0(VALU_DEP_2) | instskip(NEXT) | instid1(VALU_DEP_2)
	v_fma_f64 v[2:3], v[29:30], v[13:14], v[25:26]
	v_fma_f64 v[6:7], v[27:28], v[13:14], v[0:1]
	v_fma_f64 v[8:9], -v[29:30], v[13:14], v[25:26]
	v_fma_f64 v[13:14], v[27:28], v[13:14], -v[0:1]
	s_delay_alu instid0(VALU_DEP_4) | instskip(NEXT) | instid1(VALU_DEP_4)
	v_fma_f64 v[0:1], -v[27:28], v[11:12], v[2:3]
	v_fma_f64 v[2:3], v[29:30], v[11:12], v[6:7]
	s_delay_alu instid0(VALU_DEP_4) | instskip(NEXT) | instid1(VALU_DEP_4)
	v_fma_f64 v[6:7], v[27:28], v[11:12], v[8:9]
	v_fma_f64 v[8:9], v[29:30], v[11:12], v[13:14]
	ds_store_b128 v143, v[0:3] offset:11520
	ds_store_b128 v10, v[6:9] offset:31680
	ds_load_b128 v[0:3], v143 offset:12960
	ds_load_b128 v[6:9], v10 offset:30240
	global_load_b128 v[11:14], v[23:24], off offset:3552
	s_waitcnt lgkmcnt(0)
	v_add_f64 v[23:24], v[0:1], v[6:7]
	v_add_f64 v[25:26], v[8:9], v[2:3]
	v_add_f64 v[27:28], v[0:1], -v[6:7]
	v_add_f64 v[0:1], v[2:3], -v[8:9]
	s_waitcnt vmcnt(2)
	s_delay_alu instid0(VALU_DEP_2) | instskip(NEXT) | instid1(VALU_DEP_2)
	v_fma_f64 v[2:3], v[27:28], v[21:22], v[23:24]
	v_fma_f64 v[6:7], v[25:26], v[21:22], v[0:1]
	v_fma_f64 v[8:9], -v[27:28], v[21:22], v[23:24]
	v_fma_f64 v[21:22], v[25:26], v[21:22], -v[0:1]
	v_add_co_u32 v23, s0, 0x4000, v4
	s_delay_alu instid0(VALU_DEP_1)
	v_add_co_ci_u32_e64 v24, s0, 0, v5, s0
	v_fma_f64 v[0:1], -v[25:26], v[19:20], v[2:3]
	v_fma_f64 v[2:3], v[27:28], v[19:20], v[6:7]
	v_fma_f64 v[6:7], v[25:26], v[19:20], v[8:9]
	;; [unrolled: 1-line block ×3, first 2 shown]
	ds_store_b128 v143, v[0:3] offset:12960
	ds_store_b128 v10, v[6:9] offset:30240
	ds_load_b128 v[0:3], v143 offset:14400
	ds_load_b128 v[6:9], v10 offset:28800
	global_load_b128 v[19:22], v[23:24], off offset:896
	s_waitcnt lgkmcnt(0)
	v_add_f64 v[4:5], v[0:1], v[6:7]
	v_add_f64 v[25:26], v[8:9], v[2:3]
	v_add_f64 v[6:7], v[0:1], -v[6:7]
	v_add_f64 v[0:1], v[2:3], -v[8:9]
	s_waitcnt vmcnt(2)
	s_delay_alu instid0(VALU_DEP_2) | instskip(NEXT) | instid1(VALU_DEP_2)
	v_fma_f64 v[2:3], v[6:7], v[17:18], v[4:5]
	v_fma_f64 v[8:9], v[25:26], v[17:18], v[0:1]
	v_fma_f64 v[4:5], -v[6:7], v[17:18], v[4:5]
	v_fma_f64 v[17:18], v[25:26], v[17:18], -v[0:1]
	s_delay_alu instid0(VALU_DEP_4) | instskip(NEXT) | instid1(VALU_DEP_4)
	v_fma_f64 v[0:1], -v[25:26], v[15:16], v[2:3]
	v_fma_f64 v[2:3], v[6:7], v[15:16], v[8:9]
	s_delay_alu instid0(VALU_DEP_4) | instskip(NEXT) | instid1(VALU_DEP_4)
	v_fma_f64 v[4:5], v[25:26], v[15:16], v[4:5]
	v_fma_f64 v[6:7], v[6:7], v[15:16], v[17:18]
	ds_store_b128 v143, v[0:3] offset:14400
	ds_store_b128 v10, v[4:7] offset:28800
	ds_load_b128 v[0:3], v143 offset:15840
	ds_load_b128 v[4:7], v10 offset:27360
	global_load_b128 v[15:18], v[23:24], off offset:2336
	s_waitcnt lgkmcnt(0)
	v_add_f64 v[8:9], v[0:1], v[4:5]
	v_add_f64 v[25:26], v[6:7], v[2:3]
	v_add_f64 v[27:28], v[0:1], -v[4:5]
	v_add_f64 v[0:1], v[2:3], -v[6:7]
	s_waitcnt vmcnt(2)
	s_delay_alu instid0(VALU_DEP_2) | instskip(NEXT) | instid1(VALU_DEP_2)
	v_fma_f64 v[2:3], v[27:28], v[13:14], v[8:9]
	v_fma_f64 v[4:5], v[25:26], v[13:14], v[0:1]
	v_fma_f64 v[6:7], -v[27:28], v[13:14], v[8:9]
	v_fma_f64 v[8:9], v[25:26], v[13:14], -v[0:1]
	s_delay_alu instid0(VALU_DEP_4) | instskip(NEXT) | instid1(VALU_DEP_4)
	v_fma_f64 v[0:1], -v[25:26], v[11:12], v[2:3]
	v_fma_f64 v[2:3], v[27:28], v[11:12], v[4:5]
	s_delay_alu instid0(VALU_DEP_4) | instskip(NEXT) | instid1(VALU_DEP_4)
	v_fma_f64 v[4:5], v[25:26], v[11:12], v[6:7]
	v_fma_f64 v[6:7], v[27:28], v[11:12], v[8:9]
	;; [unrolled: 22-line block ×3, first 2 shown]
	ds_store_b128 v143, v[0:3] offset:17280
	ds_store_b128 v10, v[4:7] offset:25920
	ds_load_b128 v[0:3], v143 offset:18720
	ds_load_b128 v[4:7], v10 offset:24480
	s_waitcnt lgkmcnt(0)
	v_add_f64 v[8:9], v[0:1], v[4:5]
	v_add_f64 v[19:20], v[6:7], v[2:3]
	v_add_f64 v[21:22], v[0:1], -v[4:5]
	v_add_f64 v[0:1], v[2:3], -v[6:7]
	s_waitcnt vmcnt(1)
	s_delay_alu instid0(VALU_DEP_2) | instskip(NEXT) | instid1(VALU_DEP_2)
	v_fma_f64 v[2:3], v[21:22], v[17:18], v[8:9]
	v_fma_f64 v[4:5], v[19:20], v[17:18], v[0:1]
	v_fma_f64 v[6:7], -v[21:22], v[17:18], v[8:9]
	v_fma_f64 v[8:9], v[19:20], v[17:18], -v[0:1]
	s_delay_alu instid0(VALU_DEP_4) | instskip(NEXT) | instid1(VALU_DEP_4)
	v_fma_f64 v[0:1], -v[19:20], v[15:16], v[2:3]
	v_fma_f64 v[2:3], v[21:22], v[15:16], v[4:5]
	s_delay_alu instid0(VALU_DEP_4) | instskip(NEXT) | instid1(VALU_DEP_4)
	v_fma_f64 v[4:5], v[19:20], v[15:16], v[6:7]
	v_fma_f64 v[6:7], v[21:22], v[15:16], v[8:9]
	ds_store_b128 v143, v[0:3] offset:18720
	ds_store_b128 v10, v[4:7] offset:24480
	ds_load_b128 v[0:3], v143 offset:20160
	ds_load_b128 v[4:7], v10 offset:23040
	s_waitcnt lgkmcnt(0)
	v_add_f64 v[8:9], v[0:1], v[4:5]
	v_add_f64 v[15:16], v[6:7], v[2:3]
	v_add_f64 v[17:18], v[0:1], -v[4:5]
	v_add_f64 v[0:1], v[2:3], -v[6:7]
	s_waitcnt vmcnt(0)
	s_delay_alu instid0(VALU_DEP_2) | instskip(NEXT) | instid1(VALU_DEP_2)
	v_fma_f64 v[2:3], v[17:18], v[13:14], v[8:9]
	v_fma_f64 v[4:5], v[15:16], v[13:14], v[0:1]
	v_fma_f64 v[6:7], -v[17:18], v[13:14], v[8:9]
	v_fma_f64 v[8:9], v[15:16], v[13:14], -v[0:1]
	s_delay_alu instid0(VALU_DEP_4) | instskip(NEXT) | instid1(VALU_DEP_4)
	v_fma_f64 v[0:1], -v[15:16], v[11:12], v[2:3]
	v_fma_f64 v[2:3], v[17:18], v[11:12], v[4:5]
	s_delay_alu instid0(VALU_DEP_4) | instskip(NEXT) | instid1(VALU_DEP_4)
	v_fma_f64 v[4:5], v[15:16], v[11:12], v[6:7]
	v_fma_f64 v[6:7], v[17:18], v[11:12], v[8:9]
	v_mov_b32_e32 v9, v123
	v_mul_lo_u16 v8, 0xab, v118
	ds_store_b128 v143, v[0:3] offset:20160
	ds_store_b128 v10, v[4:7] offset:23040
	v_lshrrev_b16 v123, 9, v8
	v_mad_u32_u24 v117, v9, 48, 0
	v_mov_b32_e32 v146, v9
	s_waitcnt lgkmcnt(0)
	s_barrier
	v_mul_lo_u16 v8, v123, 3
	v_add_nc_u32_e32 v121, 0x5468, v117
	buffer_gl0_inv
	s_barrier
	v_sub_nc_u16 v8, v9, v8
	buffer_gl0_inv
	v_add_nc_u32_e32 v141, 0x5478, v117
	v_add_nc_u32_e32 v142, 0x6548, v117
	;; [unrolled: 1-line block ×3, first 2 shown]
	v_and_b32_e32 v122, 0xff, v8
	v_add_nc_u32_e32 v219, 0x7628, v117
	v_add_nc_u32_e32 v220, 0x7638, v117
	;; [unrolled: 1-line block ×4, first 2 shown]
	v_mul_u32_u24_e32 v8, 9, v122
	v_add_nc_u32_e32 v223, 0x97e8, v117
	v_add_nc_u32_e32 v224, 0x97f8, v117
	v_mul_lo_u16 v118, 0x89, v118
	s_delay_alu instid0(VALU_DEP_4)
	v_lshlrev_b32_e32 v24, 4, v8
	ds_load_b128 v[0:3], v143 offset:1440
	ds_load_b128 v[4:7], v143 offset:2880
	;; [unrolled: 1-line block ×6, first 2 shown]
	ds_load_b128 v[25:28], v143
	ds_load_b128 v[29:32], v143 offset:41760
	ds_load_b128 v[33:36], v143 offset:30240
	ds_load_b128 v[37:40], v143 offset:31680
	ds_load_b128 v[41:44], v143 offset:4320
	ds_load_b128 v[45:48], v143 offset:5760
	ds_load_b128 v[49:52], v143 offset:18720
	ds_load_b128 v[53:56], v143 offset:20160
	ds_load_b128 v[57:60], v143 offset:28800
	ds_load_b128 v[61:64], v143 offset:27360
	ds_load_b128 v[65:68], v143 offset:33120
	ds_load_b128 v[69:72], v143 offset:34560
	ds_load_b128 v[73:76], v143 offset:7200
	ds_load_b128 v[77:80], v143 offset:8640
	ds_load_b128 v[81:84], v143 offset:21600
	ds_load_b128 v[85:88], v143 offset:23040
	ds_load_b128 v[89:92], v143 offset:36000
	ds_load_b128 v[93:96], v143 offset:37440
	ds_load_b128 v[97:100], v143 offset:10080
	ds_load_b128 v[101:104], v143 offset:11520
	ds_load_b128 v[105:108], v143 offset:24480
	ds_load_b128 v[109:112], v143 offset:25920
	ds_load_b128 v[113:116], v143 offset:38880
	ds_load_b128 v[124:127], v143 offset:40320
	s_waitcnt lgkmcnt(23)
	v_add_f64 v[128:129], v[27:28], v[18:19]
	v_add_f64 v[119:120], v[25:26], v[16:17]
	;; [unrolled: 1-line block ×4, first 2 shown]
	s_waitcnt lgkmcnt(15)
	v_add_f64 v[138:139], v[16:17], v[57:58]
	v_add_f64 v[144:145], v[18:19], -v[59:60]
	v_add_f64 v[18:19], v[18:19], v[59:60]
	v_add_f64 v[147:148], v[16:17], -v[57:58]
	v_add_f64 v[16:17], v[8:9], v[33:34]
	v_add_f64 v[155:156], v[10:11], v[35:36]
	;; [unrolled: 1-line block ×6, first 2 shown]
	s_waitcnt lgkmcnt(13)
	v_add_f64 v[167:168], v[49:50], v[65:66]
	v_add_f64 v[169:170], v[51:52], -v[67:68]
	v_add_f64 v[51:52], v[51:52], v[67:68]
	v_add_f64 v[149:150], v[41:42], v[49:50]
	s_waitcnt lgkmcnt(12)
	v_add_f64 v[175:176], v[53:54], v[69:70]
	v_add_f64 v[177:178], v[55:56], v[71:72]
	s_waitcnt lgkmcnt(7)
	;; [unrolled: 3-line block ×5, first 2 shown]
	v_add_f64 v[207:208], v[109:110], v[124:125]
	v_add_f64 v[209:210], v[111:112], v[126:127]
	;; [unrolled: 1-line block ×10, first 2 shown]
	v_add_f64 v[153:154], v[10:11], -v[35:36]
	v_add_f64 v[157:158], v[8:9], -v[33:34]
	v_add_f64 v[161:162], v[14:15], -v[39:40]
	v_add_f64 v[165:166], v[12:13], -v[37:38]
	v_add_f64 v[171:172], v[49:50], -v[65:66]
	v_add_f64 v[49:50], v[45:46], v[53:54]
	v_fma_f64 v[25:26], v[138:139], -0.5, v[25:26]
	v_add_f64 v[179:180], v[53:54], -v[69:70]
	v_fma_f64 v[27:28], v[18:19], -0.5, v[27:28]
	v_add_f64 v[53:54], v[73:74], v[81:82]
	v_add_f64 v[187:188], v[77:78], v[85:86]
	;; [unrolled: 1-line block ×8, first 2 shown]
	v_fma_f64 v[33:34], v[16:17], -0.5, v[0:1]
	v_fma_f64 v[35:36], v[155:156], -0.5, v[2:3]
	v_add_f64 v[8:9], v[119:120], v[57:58]
	v_add_f64 v[2:3], v[136:137], v[39:40]
	v_fma_f64 v[39:40], v[159:160], -0.5, v[4:5]
	v_fma_f64 v[57:58], v[163:164], -0.5, v[6:7]
	v_add_f64 v[10:11], v[128:129], v[59:60]
	v_fma_f64 v[59:60], v[167:168], -0.5, v[41:42]
	v_fma_f64 v[51:52], v[51:52], -0.5, v[43:44]
	v_add_f64 v[55:56], v[55:56], -v[71:72]
	v_add_f64 v[4:5], v[149:150], v[65:66]
	v_add_f64 v[6:7], v[151:152], v[67:68]
	v_fma_f64 v[65:66], v[175:176], -0.5, v[45:46]
	v_fma_f64 v[67:68], v[177:178], -0.5, v[47:48]
	v_add_f64 v[83:84], v[83:84], -v[91:92]
	v_fma_f64 v[73:74], v[183:184], -0.5, v[73:74]
	v_add_f64 v[81:82], v[81:82], -v[89:90]
	v_fma_f64 v[75:76], v[185:186], -0.5, v[75:76]
	v_add_f64 v[87:88], v[87:88], -v[95:96]
	v_fma_f64 v[77:78], v[191:192], -0.5, v[77:78]
	v_add_f64 v[85:86], v[85:86], -v[93:94]
	v_fma_f64 v[79:80], v[193:194], -0.5, v[79:80]
	v_add_f64 v[107:108], v[107:108], -v[115:116]
	v_add_f64 v[105:106], v[105:106], -v[113:114]
	v_fma_f64 v[97:98], v[199:200], -0.5, v[97:98]
	v_fma_f64 v[99:100], v[201:202], -0.5, v[99:100]
	v_add_f64 v[111:112], v[111:112], -v[126:127]
	v_fma_f64 v[101:102], v[207:208], -0.5, v[101:102]
	v_add_f64 v[109:110], v[109:110], -v[124:125]
	;; [unrolled: 2-line block ×3, first 2 shown]
	v_add_f64 v[18:19], v[173:174], v[71:72]
	v_add_f64 v[71:72], v[181:182], v[91:92]
	;; [unrolled: 1-line block ×5, first 2 shown]
	v_fma_f64 v[126:127], v[215:216], -0.5, v[20:21]
	v_add_f64 v[61:62], v[61:62], -v[29:30]
	v_fma_f64 v[128:129], v[217:218], -0.5, v[22:23]
	v_fma_f64 v[20:21], v[144:145], s[2:3], v[25:26]
	v_fma_f64 v[22:23], v[147:148], s[6:7], v[27:28]
	;; [unrolled: 1-line block ×4, first 2 shown]
	v_add_f64 v[16:17], v[49:50], v[69:70]
	v_add_f64 v[69:70], v[53:54], v[89:90]
	v_add_f64 v[89:90], v[187:188], v[93:94]
	v_add_f64 v[93:94], v[195:196], v[113:114]
	v_add_f64 v[113:114], v[203:204], v[124:125]
	v_add_f64 v[119:120], v[211:212], v[29:30]
	v_add_f64 v[124:125], v[213:214], v[31:32]
	v_fma_f64 v[29:30], v[153:154], s[2:3], v[33:34]
	v_fma_f64 v[31:32], v[157:158], s[6:7], v[35:36]
	;; [unrolled: 1-line block ×4, first 2 shown]
	v_add_f64 v[0:1], v[134:135], v[37:38]
	v_fma_f64 v[37:38], v[161:162], s[2:3], v[39:40]
	v_fma_f64 v[41:42], v[161:162], s[6:7], v[39:40]
	;; [unrolled: 1-line block ×32, first 2 shown]
	s_barrier
	buffer_gl0_inv
	ds_store_b128 v117, v[8:11]
	ds_store_b128 v117, v[20:23] offset:16
	ds_store_b128 v117, v[25:28] offset:32
	ds_store_b128 v117, v[12:15] offset:4320
	ds_store_b128 v117, v[29:32] offset:4336
	ds_store_b128 v117, v[33:36] offset:4352
	ds_store_b128 v117, v[0:3] offset:8640
	ds_store_b128 v117, v[37:40] offset:8656
	ds_store_b128 v117, v[41:44] offset:8672
	ds_store_b128 v117, v[4:7] offset:12960
	ds_store_b128 v117, v[45:48] offset:12976
	ds_store_b128 v117, v[49:52] offset:12992
	ds_store_b128 v117, v[16:19] offset:17280
	ds_store_b128 v117, v[53:56] offset:17296
	ds_store_b128 v117, v[57:60] offset:17312
	ds_store_b64 v117, v[69:70] offset:21600
	ds_store_2addr_b64 v121, v[71:72], v[65:66] offset1:1
	ds_store_2addr_b64 v141, v[73:74], v[67:68] offset1:1
	ds_store_b64 v117, v[75:76] offset:21640
	ds_store_b64 v117, v[89:90] offset:25920
	ds_store_2addr_b64 v142, v[91:92], v[81:82] offset1:1
	ds_store_2addr_b64 v140, v[83:84], v[77:78] offset1:1
	ds_store_b64 v117, v[79:80] offset:25960
	ds_store_b64 v117, v[93:94] offset:30240
	ds_store_2addr_b64 v220, v[87:88], v[85:86] offset1:1
	ds_store_2addr_b64 v219, v[95:96], v[97:98] offset1:1
	ds_store_b64 v117, v[99:100] offset:30280
	ds_store_b64 v117, v[113:114] offset:34560
	ds_store_2addr_b64 v221, v[115:116], v[105:106] offset1:1
	ds_store_2addr_b64 v222, v[107:108], v[101:102] offset1:1
	ds_store_b64 v117, v[103:104] offset:34600
	ds_store_b64 v117, v[119:120] offset:38880
	ds_store_2addr_b64 v223, v[124:125], v[109:110] offset1:1
	ds_store_2addr_b64 v224, v[111:112], v[63:64] offset1:1
	ds_store_b64 v117, v[61:62] offset:38920
	v_add_nc_u32_e32 v116, 0x5a, v146
	s_waitcnt lgkmcnt(0)
	s_barrier
	buffer_gl0_inv
	s_clause 0x1
	global_load_b128 v[0:3], v24, s[4:5]
	global_load_b128 v[4:7], v24, s[4:5] offset:16
	v_and_b32_e32 v120, 0xff, v116
	s_clause 0x4
	global_load_b128 v[20:23], v24, s[4:5] offset:32
	global_load_b128 v[16:19], v24, s[4:5] offset:48
	;; [unrolled: 1-line block ×5, first 2 shown]
	v_mul_lo_u16 v8, 0xab, v120
	v_add_nc_u32_e32 v117, 0xb4, v146
	global_load_b128 v[64:67], v24, s[4:5] offset:128
	v_lshrrev_b16 v141, 12, v118
	v_and_b32_e32 v118, 0xffff, v123
	v_lshrrev_b16 v124, 9, v8
	global_load_b128 v[8:11], v24, s[4:5] offset:80
	v_and_b32_e32 v121, 0xffff, v117
	v_mul_lo_u16 v123, v141, 30
	v_mul_lo_u16 v25, v124, 3
	s_delay_alu instid0(VALU_DEP_1) | instskip(NEXT) | instid1(VALU_DEP_1)
	v_sub_nc_u16 v25, v116, v25
	v_and_b32_e32 v125, 0xff, v25
	v_mul_u32_u24_e32 v25, 0xaaab, v121
	s_delay_alu instid0(VALU_DEP_2) | instskip(NEXT) | instid1(VALU_DEP_2)
	v_mul_u32_u24_e32 v26, 9, v125
	v_lshrrev_b32_e32 v127, 17, v25
	s_delay_alu instid0(VALU_DEP_2)
	v_lshlrev_b32_e32 v36, 4, v26
	s_clause 0x1
	global_load_b128 v[60:63], v36, s[4:5]
	global_load_b128 v[56:59], v36, s[4:5] offset:16
	v_mul_lo_u16 v24, v127, 3
	s_clause 0x3
	global_load_b128 v[52:55], v36, s[4:5] offset:32
	global_load_b128 v[44:47], v36, s[4:5] offset:48
	;; [unrolled: 1-line block ×4, first 2 shown]
	v_sub_nc_u16 v24, v117, v24
	s_delay_alu instid0(VALU_DEP_1) | instskip(SKIP_4) | instid1(VALU_DEP_1)
	v_and_b32_e32 v126, 0xffff, v24
	s_clause 0x1
	global_load_b128 v[28:31], v36, s[4:5] offset:96
	global_load_b128 v[24:27], v36, s[4:5] offset:112
	v_mul_u32_u24_e32 v37, 9, v126
	v_lshlrev_b32_e32 v104, 4, v37
	s_clause 0x9
	global_load_b128 v[36:39], v36, s[4:5] offset:128
	global_load_b128 v[48:51], v104, s[4:5]
	global_load_b128 v[76:79], v104, s[4:5] offset:16
	global_load_b128 v[80:83], v104, s[4:5] offset:32
	;; [unrolled: 1-line block ×8, first 2 shown]
	ds_load_b128 v[112:115], v143 offset:4320
	ds_load_b128 v[108:111], v143 offset:8640
	;; [unrolled: 1-line block ×12, first 2 shown]
	s_waitcnt vmcnt(26) lgkmcnt(11)
	v_mul_f64 v[144:145], v[114:115], v[2:3]
	v_mul_f64 v[223:224], v[112:113], v[2:3]
	s_waitcnt vmcnt(25) lgkmcnt(10)
	v_mul_f64 v[227:228], v[110:111], v[6:7]
	v_mul_f64 v[6:7], v[108:109], v[6:7]
	s_waitcnt vmcnt(24) lgkmcnt(9)
	v_mul_f64 v[229:230], v[130:131], v[22:23]
	v_sub_nc_u16 v3, v146, v123
	v_mul_u32_u24_e32 v2, 0x1e0, v118
	v_mul_f64 v[22:23], v[128:129], v[22:23]
	v_and_b32_e32 v118, 0xffff, v124
	s_waitcnt vmcnt(23) lgkmcnt(8)
	v_mul_f64 v[123:124], v[134:135], v[18:19]
	v_and_b32_e32 v140, 0xff, v3
	v_mul_f64 v[231:232], v[132:133], v[18:19]
	s_waitcnt vmcnt(22) lgkmcnt(6)
	v_mul_f64 v[233:234], v[149:150], v[14:15]
	v_mul_f64 v[14:15], v[147:148], v[14:15]
	s_waitcnt vmcnt(18) lgkmcnt(4)
	v_mul_f64 v[235:236], v[157:158], v[10:11]
	scratch_store_b32 off, v140, off offset:16 ; 4-byte Folded Spill
	ds_load_b128 v[175:178], v143 offset:23040
	ds_load_b128 v[179:182], v143 offset:24480
	;; [unrolled: 1-line block ×6, first 2 shown]
	v_mul_f64 v[10:11], v[155:156], v[10:11]
	s_waitcnt lgkmcnt(8)
	v_mul_f64 v[237:238], v[165:166], v[74:75]
	v_mul_f64 v[74:75], v[163:164], v[74:75]
	ds_load_b128 v[199:202], v143 offset:10080
	ds_load_b128 v[203:206], v143 offset:11520
	;; [unrolled: 1-line block ×4, first 2 shown]
	s_waitcnt lgkmcnt(10)
	v_mul_f64 v[239:240], v[173:174], v[70:71]
	v_mul_f64 v[70:71], v[171:172], v[70:71]
	ds_load_b128 v[215:218], v143 offset:27360
	ds_load_b128 v[219:222], v143 offset:28800
	v_fma_f64 v[144:145], v[112:113], v[0:1], -v[144:145]
	v_fma_f64 v[241:242], v[114:115], v[0:1], v[223:224]
	v_fma_f64 v[227:228], v[108:109], v[4:5], -v[227:228]
	v_fma_f64 v[243:244], v[110:111], v[4:5], v[6:7]
	s_waitcnt lgkmcnt(7)
	v_mul_f64 v[0:1], v[193:194], v[66:67]
	v_mul_f64 v[3:4], v[191:192], v[66:67]
	v_fma_f64 v[66:67], v[128:129], v[20:21], -v[229:230]
	s_waitcnt vmcnt(17)
	v_mul_f64 v[5:6], v[138:139], v[62:63]
	v_mul_f64 v[62:63], v[136:137], v[62:63]
	s_waitcnt vmcnt(16) lgkmcnt(5)
	v_mul_f64 v[128:129], v[201:202], v[58:59]
	ds_load_b128 v[112:115], v143 offset:36000
	ds_load_b128 v[223:226], v143 offset:37440
	v_fma_f64 v[22:23], v[130:131], v[20:21], v[22:23]
	v_fma_f64 v[123:124], v[132:133], v[16:17], -v[123:124]
	v_fma_f64 v[16:17], v[134:135], v[16:17], v[231:232]
	v_mul_f64 v[58:59], v[199:200], v[58:59]
	s_waitcnt vmcnt(15)
	v_mul_f64 v[130:131], v[161:162], v[54:55]
	v_mul_f64 v[54:55], v[159:160], v[54:55]
	v_fma_f64 v[132:133], v[147:148], v[12:13], -v[233:234]
	v_fma_f64 v[14:15], v[149:150], v[12:13], v[14:15]
	s_waitcnt vmcnt(14) lgkmcnt(5)
	v_mul_f64 v[12:13], v[209:210], v[46:47]
	v_mul_f64 v[46:47], v[207:208], v[46:47]
	s_waitcnt vmcnt(13)
	v_mul_f64 v[134:135], v[177:178], v[42:43]
	v_mul_f64 v[42:43], v[175:176], v[42:43]
	v_fma_f64 v[147:148], v[155:156], v[8:9], -v[235:236]
	v_fma_f64 v[149:150], v[157:158], v[8:9], v[10:11]
	s_waitcnt vmcnt(12) lgkmcnt(3)
	v_mul_f64 v[155:156], v[217:218], v[34:35]
	;; [unrolled: 8-line block ×3, first 2 shown]
	v_mul_f64 v[26:27], v[112:113], v[26:27]
	s_waitcnt vmcnt(9)
	v_mul_f64 v[165:166], v[197:198], v[38:39]
	v_mul_f64 v[38:39], v[195:196], v[38:39]
	v_fma_f64 v[171:172], v[171:172], v[68:69], -v[239:240]
	v_fma_f64 v[68:69], v[173:174], v[68:69], v[70:71]
	s_waitcnt vmcnt(8)
	v_mul_f64 v[70:71], v[153:154], v[50:51]
	v_mul_f64 v[50:51], v[151:152], v[50:51]
	s_waitcnt vmcnt(7)
	v_mul_f64 v[173:174], v[205:206], v[78:79]
	v_mul_f64 v[78:79], v[203:204], v[78:79]
	s_waitcnt vmcnt(5)
	v_mul_f64 v[229:230], v[213:214], v[86:87]
	v_fma_f64 v[191:192], v[191:192], v[64:65], -v[0:1]
	v_fma_f64 v[64:65], v[193:194], v[64:65], v[3:4]
	v_mul_f64 v[193:194], v[169:170], v[82:83]
	v_mul_f64 v[82:83], v[167:168], v[82:83]
	;; [unrolled: 1-line block ×3, first 2 shown]
	v_fma_f64 v[136:137], v[136:137], v[60:61], -v[5:6]
	v_fma_f64 v[60:61], v[138:139], v[60:61], v[62:63]
	s_waitcnt vmcnt(4)
	v_mul_f64 v[62:63], v[181:182], v[90:91]
	v_mul_f64 v[90:91], v[179:180], v[90:91]
	s_waitcnt vmcnt(3)
	v_mul_f64 v[138:139], v[221:222], v[94:95]
	v_mul_f64 v[94:95], v[219:220], v[94:95]
	v_fma_f64 v[128:129], v[199:200], v[56:57], -v[128:129]
	s_waitcnt vmcnt(1) lgkmcnt(0)
	v_mul_f64 v[199:200], v[225:226], v[102:103]
	v_mul_f64 v[102:103], v[223:224], v[102:103]
	ds_load_b128 v[18:21], v143 offset:41760
	ds_load_b128 v[108:111], v143
	v_fma_f64 v[56:57], v[201:202], v[56:57], v[58:59]
	v_mul_f64 v[58:59], v[189:190], v[98:99]
	v_mul_f64 v[98:99], v[187:188], v[98:99]
	v_fma_f64 v[130:131], v[159:160], v[52:53], -v[130:131]
	v_fma_f64 v[52:53], v[161:162], v[52:53], v[54:55]
	v_lshlrev_b32_e32 v3, 4, v125
	v_lshlrev_b32_e32 v4, 4, v126
	v_fma_f64 v[125:126], v[207:208], v[44:45], -v[12:13]
	v_fma_f64 v[44:45], v[209:210], v[44:45], v[46:47]
	v_fma_f64 v[46:47], v[175:176], v[40:41], -v[134:135]
	v_fma_f64 v[40:41], v[177:178], v[40:41], v[42:43]
	;; [unrolled: 2-line block ×5, first 2 shown]
	v_fma_f64 v[26:27], v[195:196], v[36:37], -v[165:166]
	s_waitcnt vmcnt(0) lgkmcnt(1)
	v_mul_f64 v[54:55], v[20:21], v[106:107]
	v_mul_f64 v[106:107], v[18:19], v[106:107]
	v_fma_f64 v[36:37], v[197:198], v[36:37], v[38:39]
	v_fma_f64 v[38:39], v[151:152], v[48:49], -v[70:71]
	v_fma_f64 v[48:49], v[153:154], v[48:49], v[50:51]
	v_fma_f64 v[50:51], v[203:204], v[76:77], -v[173:174]
	;; [unrolled: 2-line block ×4, first 2 shown]
	v_fma_f64 v[80:81], v[213:214], v[84:85], v[86:87]
	ds_load_b128 v[6:9], v143 offset:1440
	ds_load_b128 v[10:13], v143 offset:2880
	v_fma_f64 v[62:63], v[179:180], v[88:89], -v[62:63]
	v_fma_f64 v[82:83], v[181:182], v[88:89], v[90:91]
	v_fma_f64 v[84:85], v[219:220], v[92:93], -v[138:139]
	v_fma_f64 v[86:87], v[221:222], v[92:93], v[94:95]
	v_add_f64 v[94:95], v[227:228], v[171:172]
	v_fma_f64 v[90:91], v[223:224], v[100:101], -v[199:200]
	v_fma_f64 v[92:93], v[225:226], v[100:101], v[102:103]
	s_waitcnt lgkmcnt(2)
	v_add_f64 v[102:103], v[110:111], v[243:244]
	v_add_f64 v[112:113], v[227:228], -v[123:124]
	v_fma_f64 v[58:59], v[187:188], v[96:97], -v[58:59]
	v_fma_f64 v[88:89], v[189:190], v[96:97], v[98:99]
	v_add_f64 v[96:97], v[16:17], v[149:150]
	v_add_f64 v[98:99], v[243:244], v[68:69]
	v_add_f64 v[114:115], v[171:172], -v[147:148]
	v_add_f64 v[134:135], v[243:244], -v[16:17]
	;; [unrolled: 1-line block ×6, first 2 shown]
	v_add_f64 v[193:194], v[125:126], v[42:43]
	v_add_f64 v[197:198], v[44:45], v[32:33]
	v_add_f64 v[157:158], v[64:65], -v[72:73]
	v_add_f64 v[161:162], v[14:15], v[72:73]
	v_add_f64 v[195:196], v[128:129], v[30:31]
	v_add_f64 v[199:200], v[56:57], v[24:25]
	v_add_f64 v[169:170], v[22:23], -v[64:65]
	v_fma_f64 v[18:19], v[18:19], v[104:105], -v[54:55]
	v_add_f64 v[54:55], v[123:124], v[147:148]
	v_fma_f64 v[20:21], v[20:21], v[104:105], v[106:107]
	v_add_f64 v[104:105], v[144:145], v[66:67]
	v_add_f64 v[106:107], v[241:242], v[22:23]
	v_add_f64 v[181:182], v[123:124], -v[227:228]
	v_add_f64 v[183:184], v[147:148], -v[171:172]
	;; [unrolled: 1-line block ×5, first 2 shown]
	v_add_f64 v[22:23], v[22:23], v[64:65]
	v_add_f64 v[213:214], v[72:73], -v[64:65]
	v_add_f64 v[100:101], v[108:109], v[227:228]
	s_waitcnt lgkmcnt(1)
	v_add_f64 v[215:216], v[6:7], v[128:129]
	v_add_f64 v[203:204], v[78:79], v[84:85]
	;; [unrolled: 1-line block ×3, first 2 shown]
	v_add_f64 v[253:254], v[125:126], -v[128:129]
	v_add_f64 v[205:206], v[50:51], v[90:91]
	v_add_f64 v[209:210], v[70:71], v[92:93]
	v_fma_f64 v[94:95], v[94:95], -0.5, v[108:109]
	v_add_f64 v[159:160], v[132:133], v[163:164]
	v_add_f64 v[165:166], v[66:67], -v[191:192]
	v_add_f64 v[167:168], v[132:133], -v[163:164]
	v_fma_f64 v[96:97], v[96:97], -0.5, v[110:111]
	v_fma_f64 v[98:99], v[98:99], -0.5, v[110:111]
	v_add_f64 v[110:111], v[44:45], -v[56:57]
	v_add_f64 v[173:174], v[14:15], -v[72:73]
	;; [unrolled: 1-line block ×4, first 2 shown]
	v_add_f64 v[66:67], v[66:67], v[191:192]
	v_add_f64 v[217:218], v[8:9], v[56:57]
	v_fma_f64 v[193:194], v[193:194], -0.5, v[6:7]
	s_waitcnt lgkmcnt(0)
	v_add_f64 v[223:224], v[10:11], v[50:51]
	v_add_f64 v[225:226], v[12:13], v[70:71]
	;; [unrolled: 1-line block ×3, first 2 shown]
	v_fma_f64 v[6:7], v[195:196], -0.5, v[6:7]
	v_fma_f64 v[195:196], v[197:198], -0.5, v[8:9]
	v_add_f64 v[197:198], v[32:33], -v[24:25]
	v_add_f64 v[251:252], v[40:41], v[28:29]
	v_fma_f64 v[54:55], v[54:55], -0.5, v[108:109]
	v_add_f64 v[108:109], v[42:43], -v[30:31]
	v_fma_f64 v[8:9], v[199:200], -0.5, v[8:9]
	v_add_f64 v[199:200], v[46:47], -v[130:131]
	v_add_f64 v[16:17], v[102:103], v[16:17]
	v_add_f64 v[102:103], v[34:35], -v[26:27]
	v_add_f64 v[104:105], v[104:105], v[132:133]
	;; [unrolled: 2-line block ×3, first 2 shown]
	v_add_f64 v[106:107], v[28:29], -v[36:37]
	v_add_f64 v[179:180], v[227:228], -v[171:172]
	v_add_f64 v[221:222], v[60:61], v[52:53]
	v_add_f64 v[227:228], v[38:39], v[74:75]
	v_fma_f64 v[203:204], v[203:204], -0.5, v[10:11]
	v_add_f64 v[229:230], v[48:49], v[76:77]
	v_add_f64 v[219:220], v[136:137], v[130:131]
	v_fma_f64 v[10:11], v[205:206], -0.5, v[10:11]
	v_fma_f64 v[205:206], v[207:208], -0.5, v[12:13]
	;; [unrolled: 1-line block ×3, first 2 shown]
	v_add_f64 v[207:208], v[130:131], v[26:27]
	v_add_f64 v[209:210], v[52:53], v[36:37]
	v_add_f64 v[187:188], v[149:150], -v[68:69]
	v_add_f64 v[231:232], v[128:129], -v[125:126]
	;; [unrolled: 1-line block ×10, first 2 shown]
	v_add_f64 v[112:113], v[112:113], v[114:115]
	v_add_f64 v[114:115], v[50:51], -v[78:79]
	v_add_f64 v[134:135], v[134:135], v[138:139]
	v_add_f64 v[138:139], v[90:91], -v[84:85]
	;; [unrolled: 2-line block ×4, first 2 shown]
	v_fma_f64 v[161:162], v[161:162], -0.5, v[241:242]
	v_fma_f64 v[22:23], v[22:23], -0.5, v[241:242]
	v_add_f64 v[241:242], v[74:75], -v[62:63]
	v_add_f64 v[181:182], v[181:182], v[183:184]
	v_add_f64 v[183:184], v[18:19], -v[58:59]
	v_add_f64 v[189:190], v[189:190], v[201:202]
	v_add_f64 v[201:202], v[62:63], v[58:59]
	;; [unrolled: 1-line block ×8, first 2 shown]
	v_fma_f64 v[159:160], v[159:160], -0.5, v[144:145]
	v_add_f64 v[100:101], v[100:101], v[123:124]
	v_fma_f64 v[66:67], v[66:67], -0.5, v[144:145]
	v_fma_f64 v[251:252], v[251:252], -0.5, v[60:61]
	v_fma_f64 v[249:250], v[249:250], -0.5, v[136:137]
	v_fma_f64 v[136:137], v[207:208], -0.5, v[136:137]
	v_fma_f64 v[60:61], v[209:210], -0.5, v[60:61]
	v_add_f64 v[209:210], v[62:63], -v[74:75]
	v_add_f64 v[207:208], v[58:59], -v[18:19]
	v_add_f64 v[102:103], v[199:200], v[102:103]
	v_add_f64 v[199:200], v[82:83], -v[76:77]
	v_add_f64 v[106:107], v[132:133], v[106:107]
	v_add_f64 v[132:133], v[88:89], -v[20:21]
	v_add_f64 v[130:131], v[130:131], -v[26:27]
	;; [unrolled: 1-line block ×3, first 2 shown]
	v_add_f64 v[221:222], v[221:222], v[40:41]
	v_add_f64 v[217:218], v[217:218], v[44:45]
	;; [unrolled: 1-line block ×6, first 2 shown]
	v_add_f64 v[46:47], v[46:47], -v[34:35]
	v_add_f64 v[40:41], v[40:41], -v[28:29]
	v_add_f64 v[225:226], v[225:226], v[80:81]
	v_add_f64 v[223:224], v[223:224], v[78:79]
	;; [unrolled: 1-line block ×3, first 2 shown]
	v_add_f64 v[187:188], v[76:77], -v[82:83]
	v_add_f64 v[144:145], v[20:21], -v[88:89]
	v_add_f64 v[231:232], v[231:232], v[233:234]
	v_add_f64 v[233:234], v[78:79], -v[50:51]
	v_add_f64 v[235:236], v[235:236], v[237:238]
	v_add_f64 v[237:238], v[84:85], -v[90:91]
	v_mul_u32_u24_e32 v1, 0x1e0, v118
	v_lshlrev_b32_e32 v118, 4, v122
	v_add_f64 v[239:240], v[239:240], v[243:244]
	v_add_f64 v[243:244], v[80:81], -v[70:71]
	v_add_f64 v[245:246], v[245:246], v[247:248]
	v_add_f64 v[247:248], v[86:87], -v[92:93]
	v_add_f64 v[122:123], v[123:124], -v[147:148]
	;; [unrolled: 1-line block ×5, first 2 shown]
	v_add_f64 v[114:115], v[114:115], v[138:139]
	v_add_f64 v[138:139], v[153:154], v[157:158]
	;; [unrolled: 1-line block ×3, first 2 shown]
	v_fma_f64 v[157:158], v[201:202], -0.5, v[38:39]
	v_fma_f64 v[183:184], v[213:214], -0.5, v[48:49]
	v_add_f64 v[62:63], v[62:63], -v[58:59]
	v_add_f64 v[82:83], v[82:83], -v[88:89]
	v_fma_f64 v[48:49], v[197:198], -0.5, v[48:49]
	v_fma_f64 v[38:39], v[253:254], -0.5, v[38:39]
	v_add_f64 v[100:101], v[100:101], v[147:148]
	v_add_f64 v[14:15], v[14:15], v[72:73]
	v_fma_f64 v[72:73], v[165:166], s[14:15], v[161:162]
	v_fma_f64 v[147:148], v[169:170], s[10:11], v[159:160]
	v_add_f64 v[201:202], v[209:210], v[207:208]
	v_add_f64 v[132:133], v[199:200], v[132:133]
	;; [unrolled: 1-line block ×4, first 2 shown]
	v_fma_f64 v[149:150], v[175:176], s[10:11], v[54:55]
	v_fma_f64 v[163:164], v[179:180], s[14:15], v[96:97]
	;; [unrolled: 1-line block ×9, first 2 shown]
	v_add_f64 v[44:45], v[44:45], -v[32:33]
	v_add_f64 v[42:43], v[215:216], v[42:43]
	v_add_f64 v[32:33], v[217:218], v[32:33]
	;; [unrolled: 1-line block ×5, first 2 shown]
	v_fma_f64 v[215:216], v[130:131], s[14:15], v[251:252]
	v_fma_f64 v[217:218], v[52:53], s[10:11], v[249:250]
	v_add_f64 v[80:81], v[80:81], -v[86:87]
	v_add_f64 v[78:79], v[78:79], -v[84:85]
	v_add_f64 v[34:35], v[219:220], v[34:35]
	v_add_f64 v[84:85], v[223:224], v[84:85]
	;; [unrolled: 1-line block ×3, first 2 shown]
	v_fma_f64 v[223:224], v[46:47], s[10:11], v[60:61]
	v_fma_f64 v[225:226], v[40:41], s[14:15], v[136:137]
	v_fma_f64 v[136:137], v[40:41], s[10:11], v[136:137]
	v_fma_f64 v[60:61], v[46:47], s[14:15], v[60:61]
	v_add_f64 v[144:145], v[187:188], v[144:145]
	v_add_f64 v[187:188], v[233:234], v[237:238]
	v_fma_f64 v[233:234], v[52:53], s[14:15], v[249:250]
	v_fma_f64 v[237:238], v[130:131], s[10:11], v[251:252]
	v_mul_u32_u24_e32 v0, 0x1e0, v127
	v_add_f64 v[56:57], v[56:57], -v[24:25]
	v_add_f64 v[127:128], v[128:129], -v[30:31]
	v_add_f64 v[197:198], v[243:244], v[247:248]
	v_fma_f64 v[229:230], v[124:125], s[10:11], v[8:9]
	v_fma_f64 v[8:9], v[124:125], s[14:15], v[8:9]
	;; [unrolled: 1-line block ×10, first 2 shown]
	v_add_f64 v[14:15], v[14:15], v[64:65]
	v_fma_f64 v[64:65], v[167:168], s[18:19], v[72:73]
	v_fma_f64 v[72:73], v[173:174], s[12:13], v[147:148]
	v_add_f64 v[104:105], v[104:105], v[191:192]
	v_fma_f64 v[147:148], v[177:178], s[12:13], v[149:150]
	v_fma_f64 v[149:150], v[122:123], s[18:19], v[163:164]
	v_fma_f64 v[163:164], v[165:166], s[18:19], v[199:200]
	v_fma_f64 v[191:192], v[169:170], s[12:13], v[207:208]
	v_fma_f64 v[54:55], v[175:176], s[14:15], v[54:55]
	v_fma_f64 v[66:67], v[169:170], s[18:19], v[66:67]
	v_fma_f64 v[22:23], v[165:166], s[12:13], v[22:23]
	v_fma_f64 v[213:214], v[122:123], s[10:11], v[98:99]
	v_fma_f64 v[98:99], v[122:123], s[14:15], v[98:99]
	v_fma_f64 v[159:160], v[173:174], s[18:19], v[159:160]
	v_fma_f64 v[96:97], v[122:123], s[12:13], v[96:97]
	v_fma_f64 v[122:123], v[167:168], s[12:13], v[161:162]
	v_add_f64 v[30:31], v[42:43], v[30:31]
	v_add_f64 v[28:29], v[28:29], v[36:37]
	;; [unrolled: 1-line block ×4, first 2 shown]
	v_fma_f64 v[18:19], v[46:47], s[18:19], v[215:216]
	v_fma_f64 v[20:21], v[40:41], s[12:13], v[217:218]
	v_add_f64 v[26:27], v[34:35], v[26:27]
	v_add_f64 v[34:35], v[86:87], v[92:93]
	v_fma_f64 v[86:87], v[130:131], s[18:19], v[223:224]
	v_fma_f64 v[88:89], v[52:53], s[12:13], v[225:226]
	v_add_f64 v[70:71], v[70:71], -v[92:93]
	v_add_f64 v[50:51], v[50:51], -v[90:91]
	v_fma_f64 v[52:53], v[52:53], s[18:19], v[136:137]
	v_fma_f64 v[60:61], v[130:131], s[12:13], v[60:61]
	;; [unrolled: 1-line block ×15, first 2 shown]
	v_add_f64 v[100:101], v[100:101], v[171:172]
	v_fma_f64 v[171:172], v[80:81], s[14:15], v[10:11]
	v_fma_f64 v[10:11], v[80:81], s[10:11], v[10:11]
	;; [unrolled: 1-line block ×17, first 2 shown]
	v_add_f64 v[16:17], v[16:17], v[68:69]
	v_fma_f64 v[68:69], v[78:79], s[10:11], v[12:13]
	v_fma_f64 v[12:13], v[78:79], s[14:15], v[12:13]
	;; [unrolled: 1-line block ×8, first 2 shown]
	v_add_f64 v[24:25], v[32:33], v[24:25]
	v_add_f64 v[32:33], v[84:85], v[90:91]
	v_fma_f64 v[52:53], v[102:103], s[16:17], v[52:53]
	v_fma_f64 v[60:61], v[106:107], s[16:17], v[60:61]
	;; [unrolled: 1-line block ×15, first 2 shown]
	v_add_f64 v[6:7], v[100:101], v[104:105]
	v_add_f64 v[10:11], v[100:101], -v[104:105]
	v_fma_f64 v[100:101], v[112:113], s[16:17], v[147:148]
	v_fma_f64 v[104:105], v[134:135], s[16:17], v[149:150]
	;; [unrolled: 1-line block ×11, first 2 shown]
	v_mul_f64 v[132:133], v[64:65], s[12:13]
	v_mul_f64 v[144:145], v[72:73], s[18:19]
	;; [unrolled: 1-line block ×4, first 2 shown]
	v_fma_f64 v[112:113], v[112:113], s[16:17], v[54:55]
	v_fma_f64 v[96:97], v[134:135], s[16:17], v[96:97]
	v_mul_f64 v[54:55], v[66:67], s[16:17]
	v_mul_f64 v[134:135], v[163:164], s[16:17]
	;; [unrolled: 1-line block ×4, first 2 shown]
	v_fma_f64 v[84:85], v[124:125], s[18:19], v[221:222]
	v_fma_f64 v[68:69], v[50:51], s[18:19], v[68:69]
	;; [unrolled: 1-line block ×3, first 2 shown]
	v_add_f64 v[8:9], v[16:17], v[14:15]
	v_add_f64 v[12:13], v[16:17], -v[14:15]
	v_add_f64 v[14:15], v[30:31], v[26:27]
	v_add_f64 v[18:19], v[30:31], -v[26:27]
	v_mul_f64 v[30:31], v[155:156], s[12:13]
	v_mul_f64 v[171:172], v[159:160], s[18:19]
	;; [unrolled: 1-line block ×4, first 2 shown]
	v_fma_f64 v[136:137], v[80:81], s[12:13], v[247:248]
	v_fma_f64 v[161:162], v[78:79], s[18:19], v[249:250]
	v_add_f64 v[16:17], v[24:25], v[28:29]
	v_add_f64 v[20:21], v[24:25], -v[28:29]
	v_add_f64 v[22:23], v[32:33], v[36:37]
	v_add_f64 v[24:25], v[34:35], v[42:43]
	v_add_f64 v[26:27], v[32:33], -v[36:37]
	v_add_f64 v[28:29], v[34:35], -v[42:43]
	v_mul_f64 v[32:33], v[52:53], s[16:17]
	v_mul_f64 v[34:35], v[60:61], s[16:17]
	v_fma_f64 v[44:45], v[44:45], s[18:19], v[193:194]
	v_fma_f64 v[124:125], v[124:125], s[12:13], v[195:196]
	v_mul_f64 v[36:37], v[40:41], s[20:21]
	v_mul_f64 v[42:43], v[46:47], s[20:21]
	v_fma_f64 v[177:178], v[231:232], s[16:17], v[58:59]
	v_mul_f64 v[58:59], v[128:129], s[12:13]
	v_mul_f64 v[179:180], v[130:131], s[18:19]
	v_fma_f64 v[102:103], v[181:182], s[16:17], v[199:200]
	v_fma_f64 v[94:95], v[181:182], s[16:17], v[94:95]
	v_mul_f64 v[181:182], v[147:148], s[10:11]
	v_mul_f64 v[183:184], v[149:150], s[14:15]
	v_fma_f64 v[106:107], v[185:186], s[16:17], v[207:208]
	;; [unrolled: 4-line block ×4, first 2 shown]
	v_fma_f64 v[64:65], v[64:65], s[20:21], v[144:145]
	v_fma_f64 v[132:133], v[157:158], s[16:17], v[153:154]
	;; [unrolled: 1-line block ×5, first 2 shown]
	v_fma_f64 v[54:55], v[163:164], s[10:11], -v[54:55]
	v_fma_f64 v[56:57], v[66:67], s[14:15], -v[134:135]
	;; [unrolled: 1-line block ×4, first 2 shown]
	v_fma_f64 v[84:85], v[235:236], s[16:17], v[84:85]
	v_fma_f64 v[144:145], v[159:160], s[20:21], v[30:31]
	;; [unrolled: 1-line block ×10, first 2 shown]
	v_fma_f64 v[88:89], v[60:61], s[10:11], -v[32:33]
	v_fma_f64 v[161:162], v[52:53], s[14:15], -v[34:35]
	v_fma_f64 v[126:127], v[231:232], s[16:17], v[44:45]
	v_fma_f64 v[124:125], v[235:236], s[16:17], v[124:125]
	v_fma_f64 v[163:164], v[46:47], s[12:13], -v[36:37]
	v_fma_f64 v[165:166], v[40:41], s[18:19], -v[42:43]
	v_fma_f64 v[130:131], v[130:131], s[20:21], v[58:59]
	v_fma_f64 v[128:129], v[128:129], s[20:21], v[179:180]
	;; [unrolled: 1-line block ×7, first 2 shown]
	v_fma_f64 v[167:168], v[48:49], s[10:11], -v[185:186]
	v_fma_f64 v[169:170], v[38:39], s[14:15], -v[189:190]
	v_fma_f64 v[114:115], v[114:115], s[16:17], v[80:81]
	v_fma_f64 v[138:139], v[138:139], s[16:17], v[78:79]
	v_fma_f64 v[171:172], v[62:63], s[12:13], -v[191:192]
	v_fma_f64 v[173:174], v[74:75], s[18:19], -v[193:194]
	v_add_f64 v[30:31], v[100:101], v[72:73]
	v_add_f64 v[32:33], v[104:105], v[64:65]
	;; [unrolled: 1-line block ×4, first 2 shown]
	v_add_f64 v[34:35], v[100:101], -v[72:73]
	v_add_f64 v[46:47], v[94:95], v[54:55]
	v_add_f64 v[48:49], v[98:99], v[56:57]
	v_add_f64 v[50:51], v[94:95], -v[54:55]
	v_add_f64 v[52:53], v[98:99], -v[56:57]
	v_add_f64 v[54:55], v[112:113], v[66:67]
	v_add_f64 v[56:57], v[96:97], v[122:123]
	v_add_f64 v[36:37], v[104:105], -v[64:65]
	v_add_f64 v[42:43], v[102:103], -v[132:133]
	;; [unrolled: 1-line block ×5, first 2 shown]
	v_add_f64 v[62:63], v[177:178], v[144:145]
	v_add_f64 v[64:65], v[84:85], v[151:152]
	;; [unrolled: 1-line block ×6, first 2 shown]
	v_add_f64 v[74:75], v[90:91], -v[76:77]
	v_add_f64 v[76:77], v[92:93], -v[86:87]
	;; [unrolled: 1-line block ×3, first 2 shown]
	v_add_f64 v[86:87], v[126:127], v[163:164]
	v_add_f64 v[88:89], v[124:125], v[165:166]
	v_add_f64 v[66:67], v[177:178], -v[144:145]
	v_add_f64 v[68:69], v[84:85], -v[151:152]
	v_add_f64 v[84:85], v[110:111], -v[161:162]
	v_add_f64 v[90:91], v[126:127], -v[163:164]
	v_add_f64 v[92:93], v[124:125], -v[165:166]
	v_add_f64 v[94:95], v[134:135], v[130:131]
	v_add_f64 v[96:97], v[136:137], v[128:129]
	;; [unrolled: 1-line block ×8, first 2 shown]
	v_add_f64 v[98:99], v[134:135], -v[130:131]
	v_add_f64 v[100:101], v[136:137], -v[128:129]
	;; [unrolled: 1-line block ×4, first 2 shown]
	v_mul_u32_u24_e32 v5, 9, v140
	v_add_f64 v[126:127], v[157:158], -v[167:168]
	v_add_f64 v[128:129], v[159:160], -v[169:170]
	;; [unrolled: 1-line block ×4, first 2 shown]
	v_add3_u32 v2, 0, v2, v118
	v_lshlrev_b32_e32 v114, 4, v5
	v_add3_u32 v1, 0, v1, v3
	v_add3_u32 v0, 0, v0, v4
	s_waitcnt_vscnt null, 0x0
	s_barrier
	buffer_gl0_inv
	ds_store_b128 v2, v[6:9]
	ds_store_b128 v2, v[30:33] offset:48
	ds_store_b128 v2, v[38:41] offset:96
	ds_store_b128 v2, v[46:49] offset:144
	ds_store_b128 v2, v[54:57] offset:192
	ds_store_b128 v2, v[10:13] offset:240
	ds_store_b128 v2, v[34:37] offset:288
	ds_store_b128 v2, v[42:45] offset:336
	ds_store_b128 v2, v[50:53] offset:384
	ds_store_b128 v2, v[58:61] offset:432
	ds_store_b128 v1, v[14:17]
	ds_store_b128 v1, v[62:65] offset:48
	ds_store_b128 v1, v[70:73] offset:96
	ds_store_b128 v1, v[78:81] offset:144
	ds_store_b128 v1, v[86:89] offset:192
	ds_store_b128 v1, v[18:21] offset:240
	ds_store_b128 v1, v[66:69] offset:288
	ds_store_b128 v1, v[74:77] offset:336
	ds_store_b128 v1, v[82:85] offset:384
	ds_store_b128 v1, v[90:93] offset:432
	;; [unrolled: 10-line block ×3, first 2 shown]
	s_waitcnt lgkmcnt(0)
	s_barrier
	buffer_gl0_inv
	s_clause 0x4
	global_load_b128 v[8:11], v114, s[4:5] offset:432
	global_load_b128 v[4:7], v114, s[4:5] offset:448
	;; [unrolled: 1-line block ×5, first 2 shown]
	v_mul_lo_u16 v12, 0x89, v120
	v_mul_u32_u24_e32 v40, 0x8889, v121
	s_clause 0x2
	global_load_b128 v[16:19], v114, s[4:5] offset:544
	global_load_b128 v[24:27], v114, s[4:5] offset:512
	global_load_b128 v[20:23], v114, s[4:5] offset:528
	v_lshrrev_b16 v12, 12, v12
	v_lshrrev_b32_e32 v40, 20, v40
	v_dual_mov_b32 v41, 0 :: v_dual_mov_b32 v118, v146
	v_add_nc_u32_e32 v42, 0x10e, v146
	s_clause 0x1
	scratch_store_b32 off, v12, off offset:28
	scratch_store_b32 off, v40, off offset:40
	v_mul_lo_u16 v12, v12, 30
	v_mul_lo_u16 v40, v40, 30
	v_subrev_nc_u32_e32 v121, 30, v146
	v_cmp_gt_u32_e64 s0, 30, v118
	v_lshlrev_b32_e32 v133, 1, v116
	v_sub_nc_u16 v12, v116, v12
	v_sub_nc_u16 v40, v117, v40
	v_and_b32_e32 v108, 0xffff, v141
	v_add_nc_u32_e32 v124, 0x21c, v118
	v_add_nc_u32_e32 v115, 0x32a, v118
	v_and_b32_e32 v12, 0xff, v12
	v_and_b32_e32 v40, 0xffff, v40
	v_mul_u32_u24_e32 v112, 0x12c0, v108
	v_add_nc_u32_e32 v139, 0x276, v118
	v_add_nc_u32_e32 v119, 0x2d0, v118
	v_mul_u32_u24_e32 v36, 9, v12
	s_clause 0x1
	scratch_store_b32 off, v12, off offset:20
	scratch_store_b32 off, v40, off offset:36
	global_load_b128 v[12:15], v114, s[4:5] offset:560
	v_mul_u32_u24_e32 v49, 9, v40
	v_lshlrev_b32_e32 v48, 4, v36
	v_lshlrev_b32_e32 v40, 1, v146
	v_mov_b32_e32 v148, v41
	v_lshrrev_b16 v114, 2, v124
	v_lshlrev_b32_e32 v104, 4, v49
	s_clause 0x11
	global_load_b128 v[36:39], v48, s[4:5] offset:432
	global_load_b128 v[72:75], v48, s[4:5] offset:448
	;; [unrolled: 1-line block ×18, first 2 shown]
	ds_load_b128 v[125:128], v143 offset:4320
	ds_load_b128 v[129:132], v143 offset:8640
	v_mov_b32_e32 v147, v40
	scratch_store_b32 off, v42, off offset:44 ; 4-byte Folded Spill
	v_cndmask_b32_e64 v42, v121, v42, s0
	v_mov_b32_e32 v134, v148
	v_mov_b32_e32 v136, v148
	scratch_store_b64 off, v[147:148], off  ; 8-byte Folded Spill
	v_lshlrev_b64 v[122:123], 4, v[147:148]
	v_add_nc_u32_e32 v135, 0x78, v147
	v_add_nc_u32_e32 v147, 0x12c, v147
	scratch_store_b32 off, v42, off offset:48 ; 4-byte Folded Spill
	v_dual_mov_b32 v117, v148 :: v_dual_lshlrev_b32 v116, 1, v117
	v_mov_b32_e32 v138, v148
	v_lshlrev_b64 v[183:184], 4, v[133:134]
	v_lshlrev_b64 v[215:216], 4, v[135:136]
	;; [unrolled: 1-line block ×3, first 2 shown]
	ds_load_b128 v[133:136], v143 offset:12960
	ds_load_b128 v[147:150], v143 offset:17280
	ds_load_b128 v[151:154], v143 offset:5760
	ds_load_b128 v[155:158], v143 offset:21600
	v_lshlrev_b64 v[203:204], 4, v[116:117]
	v_add_co_u32 v122, s0, s4, v122
	s_delay_alu instid0(VALU_DEP_1) | instskip(SKIP_1) | instid1(VALU_DEP_1)
	v_add_co_ci_u32_e64 v123, s0, s5, v123, s0
	v_add_co_u32 v120, s0, s4, v183
	v_add_co_ci_u32_e64 v117, s0, s5, v184, s0
	v_add_co_u32 v116, s0, s4, v203
	ds_load_b128 v[159:162], v143 offset:7200
	ds_load_b128 v[163:166], v143 offset:25920
	;; [unrolled: 1-line block ×11, first 2 shown]
	v_add_co_ci_u32_e64 v121, s0, s5, v204, s0
	ds_load_b128 v[203:206], v143 offset:33120
	ds_load_b128 v[207:210], v143 offset:40320
	;; [unrolled: 1-line block ×3, first 2 shown]
	v_lshlrev_b32_e32 v137, 1, v42
	v_add_co_u32 v40, s0, s4, v215
	s_delay_alu instid0(VALU_DEP_1) | instskip(NEXT) | instid1(VALU_DEP_3)
	v_add_co_ci_u32_e64 v140, s0, s5, v216, s0
	v_lshlrev_b64 v[137:138], 4, v[137:138]
	v_add_co_u32 v144, s0, s4, v217
	s_delay_alu instid0(VALU_DEP_1) | instskip(SKIP_1) | instid1(VALU_DEP_4)
	v_add_co_ci_u32_e64 v145, s0, s5, v218, s0
	v_lshrrev_b16 v113, 2, v139
	v_add_co_u32 v146, s0, s4, v137
	s_delay_alu instid0(VALU_DEP_1)
	v_add_co_ci_u32_e64 v255, s0, s5, v138, s0
	s_waitcnt vmcnt(26) lgkmcnt(19)
	v_mul_f64 v[219:220], v[127:128], v[10:11]
	v_mul_f64 v[10:11], v[125:126], v[10:11]
	s_waitcnt vmcnt(25) lgkmcnt(18)
	v_mul_f64 v[221:222], v[131:132], v[6:7]
	v_mul_f64 v[6:7], v[129:130], v[6:7]
	s_waitcnt vmcnt(24) lgkmcnt(17)
	v_mul_f64 v[223:224], v[135:136], v[2:3]
	v_mul_f64 v[225:226], v[133:134], v[2:3]
	s_waitcnt vmcnt(23) lgkmcnt(16)
	v_mul_f64 v[227:228], v[149:150], v[34:35]
	v_mul_f64 v[34:35], v[147:148], v[34:35]
	s_waitcnt vmcnt(22) lgkmcnt(14)
	v_mul_f64 v[229:230], v[157:158], v[30:31]
	v_mul_f64 v[231:232], v[155:156], v[30:31]
	s_waitcnt vmcnt(21) lgkmcnt(8)
	v_mul_f64 v[239:240], v[181:182], v[18:19]
	v_mul_f64 v[241:242], v[179:180], v[18:19]
	s_waitcnt vmcnt(20)
	v_mul_f64 v[233:234], v[165:166], v[26:27]
	v_mul_f64 v[235:236], v[163:164], v[26:27]
	s_waitcnt vmcnt(19)
	v_mul_f64 v[237:238], v[173:174], v[22:23]
	v_mul_f64 v[22:23], v[171:172], v[22:23]
	v_fma_f64 v[219:220], v[125:126], v[8:9], -v[219:220]
	v_fma_f64 v[243:244], v[127:128], v[8:9], v[10:11]
	v_fma_f64 v[221:222], v[129:130], v[4:5], -v[221:222]
	v_fma_f64 v[245:246], v[131:132], v[4:5], v[6:7]
	ds_load_b128 v[2:5], v143 offset:18720
	ds_load_b128 v[6:9], v143 offset:20160
	s_waitcnt vmcnt(18) lgkmcnt(8)
	v_mul_f64 v[10:11], v[189:190], v[14:15]
	v_mul_f64 v[14:15], v[187:188], v[14:15]
	v_fma_f64 v[133:134], v[133:134], v[0:1], -v[223:224]
	v_fma_f64 v[135:136], v[135:136], v[0:1], v[225:226]
	s_waitcnt vmcnt(16) lgkmcnt(5)
	v_mul_f64 v[0:1], v[201:202], v[74:75]
	v_mul_f64 v[74:75], v[199:200], v[74:75]
	v_fma_f64 v[149:150], v[149:150], v[32:33], v[34:35]
	s_waitcnt vmcnt(15)
	v_mul_f64 v[34:35], v[169:170], v[70:71]
	v_mul_f64 v[70:71], v[167:168], v[70:71]
	v_fma_f64 v[147:148], v[147:148], v[32:33], -v[227:228]
	ds_load_b128 v[30:33], v143 offset:27360
	ds_load_b128 v[125:128], v143 offset:28800
	v_fma_f64 v[155:156], v[155:156], v[28:29], -v[229:230]
	v_fma_f64 v[157:158], v[157:158], v[28:29], v[231:232]
	ds_load_b128 v[26:29], v143 offset:36000
	ds_load_b128 v[129:132], v143 offset:37440
	v_mul_f64 v[247:248], v[153:154], v[38:39]
	v_mul_f64 v[249:250], v[151:152], v[38:39]
	s_waitcnt vmcnt(13)
	v_mul_f64 v[225:226], v[185:186], v[62:63]
	v_mul_f64 v[62:63], v[183:184], v[62:63]
	s_waitcnt lgkmcnt(5)
	v_mul_f64 v[223:224], v[4:5], v[66:67]
	v_mul_f64 v[66:67], v[2:3], v[66:67]
	v_fma_f64 v[179:180], v[179:180], v[16:17], -v[239:240]
	v_fma_f64 v[181:182], v[181:182], v[16:17], v[241:242]
	s_waitcnt vmcnt(11)
	v_mul_f64 v[227:228], v[197:198], v[46:47]
	v_mul_f64 v[46:47], v[195:196], v[46:47]
	s_waitcnt vmcnt(7)
	v_mul_f64 v[229:230], v[213:214], v[82:83]
	v_mul_f64 v[82:83], v[211:212], v[82:83]
	v_fma_f64 v[163:164], v[163:164], v[24:25], -v[233:234]
	v_fma_f64 v[165:166], v[165:166], v[24:25], v[235:236]
	v_fma_f64 v[171:172], v[171:172], v[20:21], -v[237:238]
	s_waitcnt lgkmcnt(3)
	v_mul_f64 v[16:17], v[32:33], v[54:55]
	v_mul_f64 v[54:55], v[30:31], v[54:55]
	v_fma_f64 v[173:174], v[173:174], v[20:21], v[22:23]
	s_waitcnt lgkmcnt(1)
	v_mul_f64 v[42:43], v[26:27], v[253:254]
	ds_load_b128 v[18:21], v143 offset:41760
	ds_load_b128 v[22:25], v143
	v_fma_f64 v[187:188], v[187:188], v[12:13], -v[10:11]
	v_fma_f64 v[38:39], v[189:190], v[12:13], v[14:15]
	v_mul_f64 v[14:15], v[28:29], v[253:254]
	v_mul_f64 v[189:190], v[209:210], v[50:51]
	;; [unrolled: 1-line block ×3, first 2 shown]
	v_fma_f64 v[199:200], v[199:200], v[72:73], -v[0:1]
	v_fma_f64 v[72:73], v[201:202], v[72:73], v[74:75]
	s_waitcnt vmcnt(5)
	v_mul_f64 v[201:202], v[8:9], v[86:87]
	v_mul_f64 v[86:87], v[6:7], v[86:87]
	v_fma_f64 v[167:168], v[167:168], v[68:69], -v[34:35]
	v_fma_f64 v[68:69], v[169:170], v[68:69], v[70:71]
	s_waitcnt vmcnt(3)
	v_mul_f64 v[70:71], v[127:128], v[94:95]
	v_mul_f64 v[94:95], v[125:126], v[94:95]
	s_waitcnt vmcnt(2) lgkmcnt(2)
	v_mul_f64 v[169:170], v[131:132], v[102:103]
	v_fma_f64 v[151:152], v[151:152], v[36:37], -v[247:248]
	v_fma_f64 v[153:154], v[153:154], v[36:37], v[249:250]
	v_mul_f64 v[36:37], v[161:162], v[58:59]
	v_mul_f64 v[58:59], v[159:160], v[58:59]
	v_fma_f64 v[223:224], v[2:3], v[64:65], -v[223:224]
	v_fma_f64 v[64:65], v[4:5], v[64:65], v[66:67]
	v_mul_f64 v[4:5], v[129:130], v[102:103]
	v_mul_f64 v[74:75], v[177:178], v[78:79]
	;; [unrolled: 1-line block ×5, first 2 shown]
	s_waitcnt vmcnt(1)
	v_mul_f64 v[90:91], v[205:206], v[98:99]
	v_mul_f64 v[98:99], v[203:204], v[98:99]
	v_fma_f64 v[102:103], v[183:184], v[60:61], -v[225:226]
	v_fma_f64 v[60:61], v[185:186], v[60:61], v[62:63]
	s_waitcnt vmcnt(0) lgkmcnt(1)
	v_mul_f64 v[62:63], v[20:21], v[106:107]
	v_mul_f64 v[106:107], v[18:19], v[106:107]
	v_fma_f64 v[137:138], v[30:31], v[52:53], -v[16:17]
	v_fma_f64 v[52:53], v[32:33], v[52:53], v[54:55]
	v_fma_f64 v[54:55], v[195:196], v[44:45], -v[227:228]
	v_fma_f64 v[44:45], v[197:198], v[44:45], v[46:47]
	v_fma_f64 v[41:42], v[28:29], v[251:252], v[42:43]
	ds_load_b128 v[0:3], v143 offset:1440
	ds_load_b128 v[10:13], v143 offset:2880
	v_and_b32_e32 v43, 0xffff, v114
	v_add_f64 v[197:198], v[157:158], -v[135:136]
	v_add_f64 v[30:31], v[245:246], -v[149:150]
	v_fma_f64 v[46:47], v[26:27], v[251:252], -v[14:15]
	v_fma_f64 v[183:184], v[207:208], v[48:49], -v[189:190]
	v_fma_f64 v[48:49], v[209:210], v[48:49], v[50:51]
	v_fma_f64 v[50:51], v[211:212], v[80:81], -v[229:230]
	v_fma_f64 v[80:81], v[213:214], v[80:81], v[82:83]
	v_fma_f64 v[82:83], v[6:7], v[84:85], -v[201:202]
	v_fma_f64 v[84:85], v[8:9], v[84:85], v[86:87]
	v_add_f64 v[14:15], v[245:246], v[181:182]
	v_add_f64 v[26:27], v[179:180], -v[163:164]
	v_fma_f64 v[70:71], v[125:126], v[92:93], -v[70:71]
	v_fma_f64 v[92:93], v[127:128], v[92:93], v[94:95]
	v_fma_f64 v[86:87], v[129:130], v[100:101], -v[169:170]
	v_add_f64 v[6:7], v[221:222], v[179:180]
	v_add_f64 v[8:9], v[149:150], v[165:166]
	v_fma_f64 v[16:17], v[159:160], v[56:57], -v[36:37]
	v_fma_f64 v[56:57], v[161:162], v[56:57], v[58:59]
	v_add_f64 v[213:214], v[199:200], -v[223:224]
	v_add_f64 v[217:218], v[72:73], -v[64:65]
	v_fma_f64 v[94:95], v[131:132], v[100:101], v[4:5]
	v_fma_f64 v[58:59], v[175:176], v[76:77], -v[74:75]
	v_fma_f64 v[74:75], v[177:178], v[76:77], v[78:79]
	v_fma_f64 v[76:77], v[191:192], v[88:89], -v[34:35]
	;; [unrolled: 2-line block ×3, first 2 shown]
	v_fma_f64 v[88:89], v[205:206], v[96:97], v[98:99]
	v_add_f64 v[34:35], v[133:134], -v[155:156]
	v_add_f64 v[96:97], v[187:188], -v[171:172]
	v_fma_f64 v[62:63], v[18:19], v[104:105], -v[62:63]
	v_fma_f64 v[36:37], v[20:21], v[104:105], v[106:107]
	v_add_f64 v[20:21], v[221:222], -v[147:148]
	v_add_f64 v[98:99], v[135:136], -v[157:158]
	;; [unrolled: 1-line block ×3, first 2 shown]
	v_add_f64 v[106:107], v[157:158], v[173:174]
	v_add_f64 v[28:29], v[223:224], v[137:138]
	v_add_f64 v[225:226], v[41:42], -v[52:53]
	v_add_f64 v[227:228], v[167:168], -v[102:103]
	;; [unrolled: 1-line block ×8, first 2 shown]
	s_waitcnt lgkmcnt(0)
	v_add_f64 v[209:210], v[10:11], v[50:51]
	v_add_f64 v[211:212], v[12:13], v[80:81]
	;; [unrolled: 1-line block ×3, first 2 shown]
	v_fma_f64 v[253:254], v[14:15], -0.5, v[24:25]
	v_add_f64 v[104:105], v[155:156], v[171:172]
	v_add_f64 v[175:176], v[82:83], v[70:71]
	;; [unrolled: 1-line block ×4, first 2 shown]
	v_add_f64 v[108:109], v[86:87], -v[70:71]
	v_add_f64 v[193:194], v[133:134], v[187:188]
	v_add_f64 v[18:19], v[22:23], v[221:222]
	;; [unrolled: 1-line block ×6, first 2 shown]
	v_add_f64 v[235:236], v[223:224], -v[199:200]
	v_add_f64 v[237:238], v[137:138], -v[46:47]
	v_fma_f64 v[249:250], v[6:7], -0.5, v[22:23]
	v_add_f64 v[6:7], v[54:55], -v[183:184]
	v_add_f64 v[90:91], v[24:25], v[245:246]
	v_fma_f64 v[251:252], v[8:9], -0.5, v[24:25]
	v_add_f64 v[8:9], v[60:61], -v[68:69]
	v_add_f64 v[96:97], v[34:35], v[96:97]
	v_add_f64 v[34:35], v[58:59], -v[76:77]
	v_add_f64 v[24:25], v[44:45], -v[48:49]
	v_add_f64 v[205:206], v[0:1], v[199:200]
	v_add_f64 v[207:208], v[2:3], v[72:73]
	;; [unrolled: 1-line block ×3, first 2 shown]
	v_add_f64 v[100:101], v[62:63], -v[78:79]
	v_fma_f64 v[141:142], v[28:29], -0.5, v[0:1]
	v_add_f64 v[28:29], v[20:21], v[26:27]
	v_add_f64 v[14:15], v[217:218], v[225:226]
	v_add_f64 v[225:226], v[76:77], -v[58:59]
	v_add_f64 v[201:202], v[135:136], v[38:39]
	v_add_f64 v[125:126], v[147:148], -v[221:222]
	v_add_f64 v[217:218], v[227:228], v[229:230]
	v_add_f64 v[227:228], v[231:232], v[233:234]
	v_add_f64 v[229:230], v[78:79], -v[62:63]
	v_add_f64 v[231:232], v[66:67], -v[74:75]
	v_add_f64 v[26:27], v[239:240], v[241:242]
	v_add_f64 v[233:234], v[88:89], -v[36:37]
	v_fma_f64 v[239:240], v[106:107], -0.5, v[243:244]
	v_add_f64 v[106:107], v[243:244], v[135:136]
	v_fma_f64 v[175:176], v[175:176], -0.5, v[10:11]
	v_fma_f64 v[185:186], v[185:186], -0.5, v[12:13]
	;; [unrolled: 1-line block ×3, first 2 shown]
	v_add_f64 v[10:11], v[50:51], -v[82:83]
	v_fma_f64 v[247:248], v[4:5], -0.5, v[22:23]
	v_add_f64 v[4:5], v[102:103], -v[167:168]
	v_fma_f64 v[104:105], v[104:105], -0.5, v[219:220]
	v_fma_f64 v[193:194], v[193:194], -0.5, v[219:220]
	v_add_f64 v[219:220], v[219:220], v[133:134]
	v_fma_f64 v[189:190], v[189:190], -0.5, v[12:13]
	v_add_f64 v[12:13], v[213:214], v[215:216]
	v_add_f64 v[213:214], v[84:85], -v[80:81]
	v_add_f64 v[215:216], v[92:93], -v[94:95]
	v_add_f64 v[241:242], v[167:168], v[183:184]
	v_add_f64 v[18:19], v[18:19], v[147:148]
	v_fma_f64 v[129:130], v[129:130], -0.5, v[0:1]
	v_add_co_u32 v0, s0, 0x1000, v40
	s_delay_alu instid0(VALU_DEP_1)
	v_add_co_ci_u32_e64 v1, s0, 0, v140, s0
	v_fma_f64 v[131:132], v[131:132], -0.5, v[2:3]
	v_fma_f64 v[159:160], v[159:160], -0.5, v[2:3]
	v_add_co_u32 v2, s0, 0x1290, v40
	v_add_f64 v[100:101], v[34:35], v[100:101]
	v_add_co_ci_u32_e64 v3, s0, 0, v140, s0
	v_add_f64 v[22:23], v[235:236], v[237:238]
	v_add_f64 v[237:238], v[8:9], v[24:25]
	;; [unrolled: 1-line block ×3, first 2 shown]
	v_add_f64 v[135:136], v[135:136], -v[38:39]
	v_add_f64 v[127:128], v[163:164], -v[179:180]
	;; [unrolled: 1-line block ×3, first 2 shown]
	v_mul_u32_u24_e32 v43, 0x6d3b, v43
	v_add_f64 v[32:33], v[181:182], -v[165:166]
	v_add_f64 v[161:162], v[149:150], -v[245:246]
	;; [unrolled: 1-line block ×5, first 2 shown]
	v_add_f64 v[205:206], v[205:206], v[223:224]
	v_add_f64 v[149:150], v[149:150], -v[165:166]
	v_add_f64 v[20:21], v[10:11], v[108:109]
	scratch_load_b32 v10, off, off offset:16 ; 4-byte Folded Reload
	v_add_f64 v[108:109], v[102:103], v[54:55]
	v_add_f64 v[235:236], v[4:5], v[6:7]
	v_add_co_u32 v4, s0, 0x1000, v144
	s_delay_alu instid0(VALU_DEP_1)
	v_add_co_ci_u32_e64 v5, s0, 0, v145, s0
	v_add_co_u32 v6, s0, 0x1290, v144
	v_add_f64 v[34:35], v[213:214], v[215:216]
	v_add_f64 v[213:214], v[225:226], v[229:230]
	;; [unrolled: 1-line block ×4, first 2 shown]
	scratch_load_b32 v106, off, off offset:28 ; 4-byte Folded Reload
	v_add_co_ci_u32_e64 v7, s0, 0, v145, s0
	v_add_co_u32 v8, s0, 0x1000, v146
	s_delay_alu instid0(VALU_DEP_1)
	v_add_co_ci_u32_e64 v9, s0, 0, v255, s0
	v_add_f64 v[219:220], v[219:220], v[155:156]
	v_fma_f64 v[233:234], v[241:242], -0.5, v[151:152]
	v_add_f64 v[241:242], v[16:17], v[58:59]
	v_add_f64 v[163:164], v[18:19], v[163:164]
	v_add_f64 v[155:156], v[155:156], -v[171:172]
	v_add_f64 v[90:91], v[90:91], v[165:166]
	v_add_f64 v[110:111], v[80:81], -v[84:85]
	;; [unrolled: 2-line block ×3, first 2 shown]
	v_add_f64 v[215:216], v[66:67], v[88:89]
	v_add_f64 v[32:33], v[30:31], v[32:33]
	v_add_f64 v[30:31], v[94:95], -v[92:93]
	v_add_f64 v[161:162], v[161:162], v[169:170]
	v_add_f64 v[169:170], v[36:37], -v[88:89]
	;; [unrolled: 2-line block ×4, first 2 shown]
	v_fma_f64 v[201:202], v[201:202], -0.5, v[243:244]
	v_fma_f64 v[107:108], v[108:109], -0.5, v[151:152]
	v_add_f64 v[151:152], v[151:152], v[167:168]
	v_add_f64 v[221:222], v[221:222], -v[179:180]
	v_add_f64 v[157:158], v[157:158], -v[173:174]
	v_add_f64 v[211:212], v[211:212], v[84:85]
	v_add_f64 v[133:134], v[133:134], -v[187:188]
	v_add_f64 v[209:210], v[209:210], v[82:83]
	;; [unrolled: 2-line block ×3, first 2 shown]
	v_add_f64 v[64:65], v[64:65], -v[52:53]
	v_add_f64 v[199:200], v[199:200], -v[46:47]
	;; [unrolled: 1-line block ×6, first 2 shown]
	v_fma_f64 v[243:244], v[147:148], s[14:15], v[253:254]
	v_add_f64 v[80:81], v[80:81], -v[94:95]
	v_lshrrev_b16 v19, 2, v119
	v_add_f64 v[165:166], v[219:220], v[171:172]
	v_add_f64 v[171:172], v[231:232], v[173:174]
	v_add_f64 v[219:220], v[223:224], -v[137:138]
	v_add_f64 v[223:224], v[241:242], v[76:77]
	v_add_f64 v[231:232], v[245:246], -v[181:182]
	v_add_f64 v[241:242], v[102:103], -v[54:55]
	v_fma_f64 v[245:246], v[135:136], s[14:15], v[104:105]
	v_add_f64 v[163:164], v[163:164], v[179:180]
	v_add_f64 v[137:138], v[205:206], v[137:138]
	v_fma_f64 v[215:216], v[215:216], -0.5, v[56:57]
	v_add_f64 v[90:91], v[90:91], v[181:182]
	v_add_f64 v[24:25], v[110:111], v[30:31]
	;; [unrolled: 1-line block ×5, first 2 shown]
	v_fma_f64 v[229:230], v[229:230], -0.5, v[56:57]
	v_add_f64 v[56:57], v[56:57], v[74:75]
	v_add_f64 v[197:198], v[197:198], v[203:204]
	v_add_f64 v[203:204], v[70:71], -v[86:87]
	v_add_f64 v[74:75], v[74:75], -v[36:37]
	v_add_f64 v[151:152], v[151:152], v[102:103]
	v_fma_f64 v[102:103], v[135:136], s[10:11], v[104:105]
	v_fma_f64 v[179:180], v[221:222], s[14:15], v[251:252]
	v_add_f64 v[92:93], v[211:212], v[92:93]
	v_fma_f64 v[211:212], v[157:158], s[14:15], v[193:194]
	v_fma_f64 v[193:194], v[157:158], s[10:11], v[193:194]
	v_add_f64 v[70:71], v[209:210], v[70:71]
	v_add_f64 v[52:53], v[207:208], v[52:53]
	v_fma_f64 v[209:210], v[147:148], s[10:11], v[253:254]
	v_and_b32_e32 v19, 0xffff, v19
	scratch_load_b32 v105, off, off offset:36 ; 4-byte Folded Reload
	v_add_f64 v[165:166], v[165:166], v[187:188]
	v_fma_f64 v[187:188], v[133:134], s[14:15], v[239:240]
	v_fma_f64 v[239:240], v[133:134], s[10:11], v[239:240]
	v_add_f64 v[171:172], v[171:172], v[38:39]
	v_add_f64 v[137:138], v[137:138], v[46:47]
	v_fma_f64 v[109:110], v[110:111], -0.5, v[153:154]
	v_mul_u32_u24_e32 v111, 0x6d3b, v19
	v_fma_f64 v[169:170], v[169:170], -0.5, v[153:154]
	v_add_f64 v[153:154], v[153:154], v[68:69]
	v_add_f64 v[56:57], v[56:57], v[66:67]
	v_add_f64 v[68:69], v[68:69], -v[48:49]
	v_add_f64 v[30:31], v[195:196], v[203:204]
	v_add_f64 v[195:196], v[76:77], v[78:79]
	;; [unrolled: 1-line block ×4, first 2 shown]
	v_fma_f64 v[151:152], v[149:150], s[14:15], v[249:250]
	v_add_f64 v[76:77], v[76:77], -v[78:79]
	v_add_f64 v[78:79], v[223:224], v[78:79]
	v_fma_f64 v[223:224], v[155:156], s[10:11], v[201:202]
	v_fma_f64 v[201:202], v[155:156], s[14:15], v[201:202]
	v_add_f64 v[66:67], v[66:67], -v[88:89]
	v_add_f64 v[58:59], v[58:59], -v[62:63]
	v_fma_f64 v[179:180], v[147:148], s[18:19], v[179:180]
	v_fma_f64 v[211:212], v[135:136], s[12:13], v[211:212]
	;; [unrolled: 1-line block ×5, first 2 shown]
	v_add_f64 v[70:71], v[70:71], v[86:87]
	v_fma_f64 v[209:210], v[221:222], s[18:19], v[209:210]
	v_add_f64 v[52:53], v[52:53], v[41:42]
	v_fma_f64 v[41:42], v[80:81], s[10:11], v[175:176]
	v_fma_f64 v[175:176], v[80:81], s[14:15], v[175:176]
	v_fma_f64 v[187:188], v[155:156], s[18:19], v[187:188]
	v_fma_f64 v[155:156], v[155:156], s[12:13], v[239:240]
	v_add_f64 v[92:93], v[92:93], v[94:95]
	v_fma_f64 v[94:95], v[84:85], s[14:15], v[177:178]
	v_fma_f64 v[177:178], v[84:85], s[10:11], v[177:178]
	v_lshrrev_b32_e32 v111, 21, v111
	s_delay_alu instid0(VALU_DEP_1)
	v_mul_lo_u16 v111, 0x12c, v111
	v_fma_f64 v[38:39], v[167:168], s[14:15], v[109:110]
	v_fma_f64 v[109:110], v[167:168], s[10:11], v[109:110]
	v_add_f64 v[153:154], v[153:154], v[60:61]
	v_add_f64 v[60:61], v[60:61], -v[44:45]
	v_add_f64 v[56:57], v[56:57], v[88:89]
	v_fma_f64 v[88:89], v[231:232], s[10:11], v[247:248]
	v_fma_f64 v[247:248], v[231:232], s[14:15], v[247:248]
	v_fma_f64 v[195:196], v[195:196], -0.5, v[16:17]
	v_fma_f64 v[203:204], v[203:204], -0.5, v[16:17]
	v_fma_f64 v[151:152], v[231:232], s[12:13], v[151:152]
	v_add_f64 v[54:55], v[54:55], v[183:184]
	v_fma_f64 v[183:184], v[50:51], s[14:15], v[185:186]
	v_fma_f64 v[223:224], v[133:134], s[18:19], v[223:224]
	v_fma_f64 v[133:134], v[133:134], s[12:13], v[201:202]
	v_fma_f64 v[201:202], v[241:242], s[10:11], v[169:170]
	v_fma_f64 v[169:170], v[241:242], s[14:15], v[169:170]
	v_fma_f64 v[239:240], v[58:59], s[14:15], v[215:216]
	v_fma_f64 v[215:216], v[58:59], s[10:11], v[215:216]
	v_fma_f64 v[185:186], v[50:51], s[10:11], v[185:186]
	v_add_f64 v[62:63], v[78:79], v[62:63]
	v_fma_f64 v[78:79], v[82:83], s[10:11], v[189:190]
	v_fma_f64 v[189:190], v[82:83], s[14:15], v[189:190]
	;; [unrolled: 1-line block ×4, first 2 shown]
	v_sub_nc_u16 v111, v119, v111
	v_fma_f64 v[94:95], v[80:81], s[12:13], v[94:95]
	v_fma_f64 v[80:81], v[80:81], s[18:19], v[177:178]
	s_delay_alu instid0(VALU_DEP_3)
	v_and_b32_e32 v111, 0xffff, v111
	scratch_store_b32 off, v111, off offset:16 ; 4-byte Folded Spill
	v_lshlrev_b32_e32 v111, 5, v111
	v_fma_f64 v[109:110], v[241:242], s[12:13], v[109:110]
	v_fma_f64 v[88:89], v[149:150], s[12:13], v[88:89]
	;; [unrolled: 1-line block ×11, first 2 shown]
	s_delay_alu instid0(VALU_DEP_4) | instskip(SKIP_3) | instid1(VALU_DEP_1)
	v_fma_f64 v[177:178], v[34:35], s[16:17], v[177:178]
	s_waitcnt vmcnt(2)
	v_lshlrev_b32_e32 v18, 4, v10
	v_add_co_u32 v10, s0, 0x1290, v146
	v_add_co_ci_u32_e64 v11, s0, 0, v255, s0
	v_mov_b32_e32 v255, v115
	s_delay_alu instid0(VALU_DEP_4) | instskip(SKIP_1) | instid1(VALU_DEP_3)
	v_add3_u32 v40, 0, v112, v18
	v_and_b32_e32 v112, 0xffff, v113
	v_lshrrev_b16 v18, 2, v255
	s_delay_alu instid0(VALU_DEP_2) | instskip(SKIP_4) | instid1(VALU_DEP_1)
	v_mul_u32_u24_e32 v112, 0x6d3b, v112
	s_waitcnt vmcnt(1)
	v_and_b32_e32 v114, 0xffff, v106
	scratch_load_b32 v106, off, off offset:40 ; 4-byte Folded Reload
	v_and_b32_e32 v18, 0xffff, v18
	v_mul_u32_u24_e32 v113, 0x6d3b, v18
	v_add_co_u32 v18, s0, 0x1000, v122
	s_delay_alu instid0(VALU_DEP_1) | instskip(SKIP_1) | instid1(VALU_DEP_1)
	v_add_co_ci_u32_e64 v19, s0, 0, v123, s0
	v_add_co_u32 v16, s0, 0x1290, v122
	v_add_co_ci_u32_e64 v17, s0, 0, v123, s0
	v_add_co_u32 v173, s0, 0x1000, v120
	s_delay_alu instid0(VALU_DEP_1) | instskip(SKIP_1) | instid1(VALU_DEP_1)
	v_add_co_ci_u32_e64 v174, s0, 0, v117, s0
	v_add_co_u32 v205, s0, 0x1290, v120
	v_add_co_ci_u32_e64 v206, s0, 0, v117, s0
	;; [unrolled: 5-line block ×3, first 2 shown]
	s_waitcnt vmcnt(0)
	v_mul_u32_u24_e32 v144, 0x12c0, v106
	v_lshrrev_b32_e32 v106, 21, v43
	v_lshrrev_b32_e32 v43, 21, v112
	;; [unrolled: 1-line block ×3, first 2 shown]
	v_mul_u32_u24_e32 v113, 0x12c0, v114
	scratch_load_b32 v114, off, off offset:20 ; 4-byte Folded Reload
	s_waitcnt vmcnt(0)
	s_waitcnt_vscnt null, 0x0
	v_mul_lo_u16 v140, 0x12c, v43
	v_add_f64 v[43:44], v[153:154], v[44:45]
	v_fma_f64 v[153:154], v[149:150], s[10:11], v[249:250]
	v_fma_f64 v[249:250], v[221:222], s[10:11], v[251:252]
	;; [unrolled: 1-line block ×12, first 2 shown]
	v_mul_lo_u16 v112, 0x12c, v112
	v_sub_nc_u16 v104, v139, v140
	s_barrier
	buffer_gl0_inv
	v_mul_u32_u24_e32 v146, 0x3840, v106
	v_sub_nc_u16 v112, v255, v112
	v_and_b32_e32 v140, 0xffff, v104
	s_delay_alu instid0(VALU_DEP_2) | instskip(NEXT) | instid1(VALU_DEP_2)
	v_and_b32_e32 v104, 0xffff, v112
	v_lshlrev_b32_e32 v103, 5, v140
	s_delay_alu instid0(VALU_DEP_2)
	v_lshlrev_b32_e32 v112, 5, v104
	v_add_f64 v[253:254], v[43:44], v[48:49]
	v_fma_f64 v[153:154], v[231:232], s[18:19], v[153:154]
	v_fma_f64 v[231:232], v[68:69], s[10:11], v[107:108]
	;; [unrolled: 1-line block ×9, first 2 shown]
	v_add_f64 v[229:230], v[56:57], v[36:37]
	v_fma_f64 v[56:57], v[241:242], s[18:19], v[38:39]
	v_fma_f64 v[245:246], v[68:69], s[12:13], v[245:246]
	;; [unrolled: 1-line block ×8, first 2 shown]
	v_add_f64 v[36:37], v[163:164], v[165:166]
	v_add_f64 v[38:39], v[90:91], v[171:172]
	v_add_f64 v[41:42], v[163:164], -v[165:166]
	v_fma_f64 v[84:85], v[84:85], s[18:19], v[175:176]
	v_fma_f64 v[165:166], v[32:33], s[16:17], v[179:180]
	;; [unrolled: 1-line block ×3, first 2 shown]
	v_mul_f64 v[28:29], v[135:136], s[16:17]
	v_add_f64 v[49:50], v[137:138], -v[54:55]
	v_fma_f64 v[125:126], v[125:126], s[16:17], v[153:154]
	v_fma_f64 v[231:232], v[60:61], s[12:13], v[231:232]
	;; [unrolled: 1-line block ×16, first 2 shown]
	v_add_f64 v[43:44], v[90:91], -v[171:172]
	v_fma_f64 v[90:91], v[237:238], s[16:17], v[201:202]
	v_fma_f64 v[163:164], v[235:236], s[16:17], v[245:246]
	;; [unrolled: 1-line block ×5, first 2 shown]
	v_mul_f64 v[32:33], v[133:134], s[16:17]
	v_fma_f64 v[249:250], v[199:200], s[18:19], v[249:250]
	v_fma_f64 v[141:142], v[20:21], s[16:17], v[141:142]
	;; [unrolled: 1-line block ×11, first 2 shown]
	v_add_f64 v[47:48], v[52:53], v[253:254]
	v_mul_f64 v[127:128], v[183:184], s[18:19]
	v_add_f64 v[51:52], v[52:53], -v[253:254]
	v_add_f64 v[59:60], v[92:93], -v[229:230]
	v_mul_f64 v[203:204], v[90:91], s[10:11]
	v_mul_f64 v[209:210], v[163:164], s[14:15]
	v_fma_f64 v[167:168], v[24:25], s[16:17], v[167:168]
	v_mul_f64 v[201:202], v[157:158], s[18:19]
	v_mul_f64 v[215:216], v[131:132], s[12:13]
	;; [unrolled: 1-line block ×5, first 2 shown]
	v_fma_f64 v[90:91], v[90:91], s[16:17], v[209:210]
	s_delay_alu instid0(VALU_DEP_4) | instskip(NEXT) | instid1(VALU_DEP_4)
	v_fma_f64 v[185:186], v[185:186], s[16:17], v[219:220]
	v_fma_f64 v[169:170], v[169:170], s[16:17], v[221:222]
	v_lshlrev_b32_e32 v114, 4, v114
	s_delay_alu instid0(VALU_DEP_1) | instskip(SKIP_1) | instid1(VALU_DEP_1)
	v_add3_u32 v113, 0, v113, v114
	v_mul_lo_u16 v114, 0x12c, v106
	v_sub_nc_u16 v45, v124, v114
	v_lshlrev_b32_e32 v114, 4, v105
	s_delay_alu instid0(VALU_DEP_2)
	v_and_b32_e32 v105, 0xffff, v45
	v_fma_f64 v[45:46], v[74:75], s[10:11], v[195:196]
	v_fma_f64 v[195:196], v[74:75], s[14:15], v[195:196]
	;; [unrolled: 1-line block ×7, first 2 shown]
	v_mul_f64 v[197:198], v[96:97], s[20:21]
	v_add_f64 v[57:58], v[70:71], -v[62:63]
	v_lshlrev_b32_e32 v102, 5, v105
	v_fma_f64 v[45:46], v[66:67], s[12:13], v[45:46]
	v_fma_f64 v[66:67], v[66:67], s[18:19], v[195:196]
	;; [unrolled: 1-line block ×4, first 2 shown]
	v_mul_f64 v[161:162], v[187:188], s[10:11]
	v_mul_f64 v[199:200], v[98:99], s[20:21]
	;; [unrolled: 1-line block ×4, first 2 shown]
	v_fma_f64 v[98:99], v[98:99], s[12:13], -v[197:198]
	v_fma_f64 v[197:198], v[34:35], s[16:17], v[78:79]
	v_fma_f64 v[179:180], v[100:101], s[16:17], v[45:46]
	;; [unrolled: 1-line block ×3, first 2 shown]
	v_mul_f64 v[100:101], v[86:87], s[12:13]
	v_mul_f64 v[191:192], v[195:196], s[14:15]
	v_add_f64 v[45:46], v[137:138], v[54:55]
	v_mul_f64 v[137:138], v[155:156], s[12:13]
	v_add_f64 v[53:54], v[70:71], v[62:63]
	v_mul_f64 v[61:62], v[68:69], s[16:17]
	v_mul_f64 v[70:71], v[159:160], s[16:17]
	;; [unrolled: 1-line block ×3, first 2 shown]
	v_add_f64 v[55:56], v[92:93], v[229:230]
	v_mul_f64 v[229:230], v[76:77], s[20:21]
	v_fma_f64 v[86:87], v[86:87], s[20:21], v[127:128]
	v_fma_f64 v[161:162], v[195:196], s[16:17], v[161:162]
	v_fma_f64 v[96:97], v[96:97], s[18:19], -v[199:200]
	v_fma_f64 v[92:93], v[12:13], s[16:17], v[243:244]
	v_fma_f64 v[195:196], v[14:15], s[16:17], v[107:108]
	;; [unrolled: 1-line block ×3, first 2 shown]
	v_fma_f64 v[109:110], v[109:110], s[12:13], -v[211:212]
	v_fma_f64 v[175:176], v[175:176], s[18:19], -v[213:214]
	v_fma_f64 v[199:200], v[20:21], s[16:17], v[84:85]
	v_mul_f64 v[217:218], v[179:180], s[18:19]
	v_mul_f64 v[227:228], v[66:67], s[20:21]
	v_fma_f64 v[100:101], v[183:184], s[20:21], v[100:101]
	v_fma_f64 v[187:188], v[187:188], s[16:17], v[191:192]
	;; [unrolled: 1-line block ×3, first 2 shown]
	v_fma_f64 v[72:73], v[133:134], s[10:11], -v[28:29]
	v_fma_f64 v[133:134], v[135:136], s[14:15], -v[32:33]
	v_fma_f64 v[107:108], v[157:158], s[20:21], v[137:138]
	v_fma_f64 v[137:138], v[155:156], s[20:21], v[201:202]
	;; [unrolled: 1-line block ×5, first 2 shown]
	v_fma_f64 v[157:158], v[159:160], s[10:11], -v[61:62]
	v_fma_f64 v[159:160], v[68:69], s[14:15], -v[70:71]
	v_fma_f64 v[135:136], v[12:13], s[16:17], v[64:65]
	v_fma_f64 v[179:180], v[179:180], s[20:21], v[215:216]
	v_fma_f64 v[163:164], v[30:31], s[16:17], v[80:81]
	v_fma_f64 v[189:190], v[189:190], s[10:11], -v[223:224]
	v_fma_f64 v[203:204], v[74:75], s[14:15], -v[225:226]
	v_fma_f64 v[201:202], v[24:25], s[16:17], v[82:83]
	v_fma_f64 v[211:212], v[66:67], s[18:19], -v[229:230]
	v_add_f64 v[14:15], v[165:166], v[86:87]
	v_add_f64 v[24:25], v[151:152], v[161:162]
	;; [unrolled: 1-line block ×4, first 2 shown]
	v_add_f64 v[22:23], v[165:166], -v[86:87]
	v_add_f64 v[28:29], v[151:152], -v[161:162]
	;; [unrolled: 1-line block ×4, first 2 shown]
	v_fma_f64 v[131:132], v[131:132], s[20:21], v[217:218]
	v_fma_f64 v[209:210], v[76:77], s[12:13], -v[227:228]
	v_add_f64 v[12:13], v[88:89], v[100:101]
	v_add_f64 v[26:27], v[171:172], v[187:188]
	v_add_f64 v[20:21], v[88:89], -v[100:101]
	v_add_f64 v[32:33], v[125:126], v[72:73]
	v_add_f64 v[34:35], v[153:154], v[133:134]
	v_add_f64 v[30:31], v[171:172], -v[187:188]
	v_add_f64 v[61:62], v[125:126], -v[72:73]
	;; [unrolled: 1-line block ×4, first 2 shown]
	v_add_f64 v[73:74], v[92:93], v[107:108]
	v_add_f64 v[75:76], v[193:194], v[137:138]
	;; [unrolled: 1-line block ×4, first 2 shown]
	v_add_f64 v[77:78], v[92:93], -v[107:108]
	v_add_f64 v[87:88], v[183:184], -v[90:91]
	v_add_f64 v[89:90], v[191:192], v[157:158]
	v_add_f64 v[91:92], v[129:130], v[159:160]
	;; [unrolled: 1-line block ×4, first 2 shown]
	v_add_f64 v[79:80], v[193:194], -v[137:138]
	v_add_f64 v[85:86], v[127:128], -v[94:95]
	;; [unrolled: 1-line block ×6, first 2 shown]
	v_add_f64 v[125:126], v[141:142], v[179:180]
	v_add_f64 v[133:134], v[155:156], v[185:186]
	;; [unrolled: 1-line block ×5, first 2 shown]
	v_add_f64 v[147:148], v[155:156], -v[185:186]
	v_add_f64 v[157:158], v[201:202], v[211:212]
	v_add_f64 v[129:130], v[141:142], -v[179:180]
	v_add_f64 v[159:160], v[163:164], -v[189:190]
	;; [unrolled: 1-line block ×4, first 2 shown]
	v_add_f64 v[127:128], v[167:168], v[131:132]
	v_add_f64 v[155:156], v[199:200], v[209:210]
	v_add_f64 v[131:132], v[167:168], -v[131:132]
	v_add_f64 v[163:164], v[199:200], -v[209:210]
	v_add3_u32 v101, 0, v144, v114
	ds_store_b128 v40, v[36:39]
	ds_store_b128 v40, v[12:15] offset:480
	ds_store_b128 v40, v[24:27] offset:960
	ds_store_b128 v40, v[32:35] offset:1440
	ds_store_b128 v40, v[65:68] offset:1920
	ds_store_b128 v40, v[41:44] offset:2400
	ds_store_b128 v40, v[20:23] offset:2880
	ds_store_b128 v40, v[28:31] offset:3360
	ds_store_b128 v40, v[61:64] offset:3840
	ds_store_b128 v40, v[69:72] offset:4320
	ds_store_b128 v113, v[45:48]
	ds_store_b128 v113, v[73:76] offset:480
	ds_store_b128 v113, v[81:84] offset:960
	ds_store_b128 v113, v[89:92] offset:1440
	ds_store_b128 v113, v[97:100] offset:1920
	ds_store_b128 v113, v[49:52] offset:2400
	ds_store_b128 v113, v[77:80] offset:2880
	ds_store_b128 v113, v[85:88] offset:3360
	ds_store_b128 v113, v[93:96] offset:3840
	ds_store_b128 v113, v[107:110] offset:4320
	;; [unrolled: 10-line block ×3, first 2 shown]
	v_add_co_u32 v12, s0, s4, v102
	s_delay_alu instid0(VALU_DEP_1) | instskip(SKIP_1) | instid1(VALU_DEP_1)
	v_add_co_ci_u32_e64 v13, null, s5, 0, s0
	v_add_co_u32 v14, s0, s4, v103
	v_add_co_ci_u32_e64 v15, null, s5, 0, s0
	v_add_co_u32 v34, s0, s4, v111
	s_delay_alu instid0(VALU_DEP_1)
	v_add_co_ci_u32_e64 v35, null, s5, 0, s0
	v_add_co_u32 v46, s0, s4, v112
	s_waitcnt lgkmcnt(0)
	s_barrier
	buffer_gl0_inv
	s_clause 0x1
	global_load_b128 v[64:67], v[18:19], off offset:656
	global_load_b128 v[60:63], v[16:17], off offset:16
	v_add_co_ci_u32_e64 v47, null, s5, 0, s0
	v_add_co_u32 v16, s0, 0x1000, v12
	s_delay_alu instid0(VALU_DEP_1) | instskip(SKIP_1) | instid1(VALU_DEP_1)
	v_add_co_ci_u32_e64 v17, s0, 0, v13, s0
	v_add_co_u32 v20, s0, 0x1290, v12
	v_add_co_ci_u32_e64 v21, s0, 0, v13, s0
	v_add_co_u32 v22, s0, 0x1000, v14
	s_delay_alu instid0(VALU_DEP_1)
	v_add_co_ci_u32_e64 v23, s0, 0, v15, s0
	s_clause 0x7
	global_load_b128 v[56:59], v[173:174], off offset:656
	global_load_b128 v[76:79], v[205:206], off offset:16
	;; [unrolled: 1-line block ×8, first 2 shown]
	v_add_co_u32 v8, s0, 0x1290, v14
	s_delay_alu instid0(VALU_DEP_1) | instskip(SKIP_1) | instid1(VALU_DEP_1)
	v_add_co_ci_u32_e64 v9, s0, 0, v15, s0
	v_add_co_u32 v32, s0, 0x1000, v34
	v_add_co_ci_u32_e64 v33, s0, 0, v35, s0
	v_add_co_u32 v34, s0, 0x1290, v34
	s_delay_alu instid0(VALU_DEP_1) | instskip(SKIP_1) | instid1(VALU_DEP_1)
	v_add_co_ci_u32_e64 v35, s0, 0, v35, s0
	v_add_co_u32 v44, s0, 0x1000, v46
	v_add_co_ci_u32_e64 v45, s0, 0, v47, s0
	v_add_co_u32 v52, s0, 0x1290, v46
	s_delay_alu instid0(VALU_DEP_1)
	v_add_co_ci_u32_e64 v53, s0, 0, v47, s0
	s_clause 0x9
	global_load_b128 v[12:15], v[4:5], off offset:656
	global_load_b128 v[0:3], v[6:7], off offset:16
	;; [unrolled: 1-line block ×10, first 2 shown]
	s_clause 0x2
	scratch_load_b64 v[203:204], off, off
	scratch_load_b32 v82, off, off offset:44
	scratch_load_b32 v85, off, off offset:48
	v_mov_b32_e32 v80, v118
	v_cmp_lt_u32_e64 s0, 29, v118
	ds_load_b128 v[108:111], v143 offset:14400
	ds_load_b128 v[112:115], v143 offset:28800
	scratch_store_b64 off, v[80:81], off offset:28 ; 8-byte Folded Spill
	v_cndmask_b32_e64 v80, 0, 0x3840, s0
	s_waitcnt vmcnt(21) lgkmcnt(0)
	v_mul_f64 v[211:212], v[114:115], v[62:63]
	v_mul_f64 v[62:63], v[112:113], v[62:63]
	s_delay_alu instid0(VALU_DEP_2) | instskip(NEXT) | instid1(VALU_DEP_2)
	v_fma_f64 v[112:113], v[112:113], v[60:61], -v[211:212]
	v_fma_f64 v[114:115], v[114:115], v[60:61], v[62:63]
	s_waitcnt vmcnt(2)
	v_add_nc_u32_e32 v81, 0x2d0, v203
	s_waitcnt vmcnt(1)
	v_dual_mov_b32 v84, v204 :: v_dual_lshlrev_b32 v83, 1, v82
	v_dual_mov_b32 v82, v204 :: v_dual_add_nc_u32 v203, 0x384, v203
	s_waitcnt vmcnt(0)
	v_lshlrev_b32_e32 v91, 4, v85
	s_delay_alu instid0(VALU_DEP_3) | instskip(NEXT) | instid1(VALU_DEP_3)
	v_lshlrev_b64 v[87:88], 4, v[83:84]
	v_lshlrev_b64 v[89:90], 4, v[81:82]
	v_add_co_u32 v82, s0, 0x3000, v122
	s_delay_alu instid0(VALU_DEP_1) | instskip(SKIP_1) | instid1(VALU_DEP_1)
	v_add_co_ci_u32_e64 v83, s0, 0, v123, s0
	v_add_co_u32 v144, s0, 0x3810, v122
	v_add_co_ci_u32_e64 v145, s0, 0, v123, s0
	v_lshlrev_b64 v[85:86], 4, v[203:204]
	v_add_co_u32 v94, s0, s4, v87
	s_delay_alu instid0(VALU_DEP_1) | instskip(SKIP_1) | instid1(VALU_DEP_1)
	v_add_co_ci_u32_e64 v95, s0, s5, v88, s0
	v_add_co_u32 v98, s0, s4, v89
	v_add_co_ci_u32_e64 v99, s0, s5, v90, s0
	v_add_co_u32 v102, s0, s4, v85
	s_delay_alu instid0(VALU_DEP_1) | instskip(SKIP_1) | instid1(VALU_DEP_1)
	v_add_co_ci_u32_e64 v103, s0, s5, v86, s0
	v_add_co_u32 v84, s0, 0x3000, v120
	v_add_co_ci_u32_e64 v85, s0, 0, v117, s0
	;; [unrolled: 5-line block ×3, first 2 shown]
	v_add_co_u32 v90, s0, 0x3810, v116
	v_add3_u32 v107, 0, v80, v91
	v_add_co_ci_u32_e64 v91, s0, 0, v121, s0
	v_add_co_u32 v92, s0, 0x3000, v94
	s_delay_alu instid0(VALU_DEP_1) | instskip(SKIP_2) | instid1(VALU_DEP_1)
	v_add_co_ci_u32_e64 v93, s0, 0, v95, s0
	v_lshlrev_b32_e32 v203, 1, v124
	v_add_co_u32 v96, s0, 0x3810, v94
	v_add_co_ci_u32_e64 v97, s0, 0, v95, s0
	v_add_co_u32 v94, s0, 0x3000, v98
	s_delay_alu instid0(VALU_DEP_4) | instskip(SKIP_3) | instid1(VALU_DEP_1)
	v_lshlrev_b64 v[124:125], 4, v[203:204]
	v_lshlrev_b32_e32 v203, 1, v139
	v_add_co_ci_u32_e64 v95, s0, 0, v99, s0
	v_add_co_u32 v98, s0, 0x3810, v98
	v_add_co_ci_u32_e64 v99, s0, 0, v99, s0
	v_add_co_u32 v100, s0, 0x3000, v102
	v_lshlrev_b64 v[128:129], 4, v[203:204]
	v_lshlrev_b32_e32 v203, 1, v119
	ds_load_b128 v[116:119], v143 offset:15840
	v_mul_f64 v[209:210], v[110:111], v[66:67]
	v_add_co_ci_u32_e64 v101, s0, 0, v103, s0
	v_add_co_u32 v141, s0, 0x3810, v102
	s_delay_alu instid0(VALU_DEP_1) | instskip(SKIP_1) | instid1(VALU_DEP_1)
	v_add_co_ci_u32_e64 v142, s0, 0, v103, s0
	v_add_co_u32 v102, s0, s4, v124
	v_add_co_ci_u32_e64 v103, s0, s5, v125, s0
	v_lshlrev_b64 v[80:81], 4, v[203:204]
	s_delay_alu instid0(VALU_DEP_3) | instskip(NEXT) | instid1(VALU_DEP_1)
	v_add_co_u32 v205, s0, 0x3000, v102
	v_add_co_ci_u32_e64 v206, s0, 0, v103, s0
	v_add_co_u32 v207, s0, 0x3810, v102
	s_delay_alu instid0(VALU_DEP_1)
	v_add_co_ci_u32_e64 v208, s0, 0, v103, s0
	v_lshlrev_b32_e32 v203, 1, v255
	v_add_co_u32 v255, s0, s4, v128
	scratch_store_b64 off, v[80:81], off offset:20 ; 8-byte Folded Spill
	ds_load_b128 v[120:123], v143 offset:12960
	ds_load_b128 v[124:127], v143 offset:30240
	v_add_co_ci_u32_e64 v80, s0, s5, v129, s0
	ds_load_b128 v[128:131], v143 offset:27360
	ds_load_b128 v[132:135], v143 offset:17280
	;; [unrolled: 1-line block ×15, first 2 shown]
	v_mul_f64 v[66:67], v[108:109], v[66:67]
	s_waitcnt lgkmcnt(17)
	v_mul_f64 v[213:214], v[118:119], v[58:59]
	v_mul_f64 v[58:59], v[116:117], v[58:59]
	ds_load_b128 v[195:198], v143 offset:41760
	ds_load_b128 v[199:202], v143
	v_lshlrev_b32_e32 v81, 4, v105
	v_fma_f64 v[108:109], v[108:109], v[64:65], -v[209:210]
	s_delay_alu instid0(VALU_DEP_2)
	v_add3_u32 v81, 0, v146, v81
	s_waitcnt lgkmcnt(17)
	v_mul_f64 v[215:216], v[126:127], v[78:79]
	v_mul_f64 v[78:79], v[124:125], v[78:79]
	s_waitcnt lgkmcnt(15)
	v_mul_f64 v[217:218], v[134:135], v[74:75]
	v_mul_f64 v[74:75], v[132:133], v[74:75]
	;; [unrolled: 3-line block ×3, first 2 shown]
	s_waitcnt lgkmcnt(13)
	v_mul_f64 v[221:222], v[149:150], v[50:51]
	s_waitcnt lgkmcnt(11)
	v_mul_f64 v[223:224], v[157:158], v[42:43]
	v_mul_f64 v[42:43], v[155:156], v[42:43]
	;; [unrolled: 1-line block ×4, first 2 shown]
	s_waitcnt lgkmcnt(10)
	v_mul_f64 v[229:230], v[159:160], v[26:27]
	s_waitcnt lgkmcnt(9)
	v_mul_f64 v[209:210], v[165:166], v[14:15]
	v_mul_f64 v[14:15], v[163:164], v[14:15]
	s_waitcnt lgkmcnt(7)
	v_mul_f64 v[231:232], v[173:174], v[2:3]
	;; [unrolled: 3-line block ×4, first 2 shown]
	s_waitcnt lgkmcnt(3)
	v_mul_f64 v[237:238], v[189:190], v[10:11]
	v_mul_f64 v[10:11], v[187:188], v[10:11]
	;; [unrolled: 1-line block ×6, first 2 shown]
	v_fma_f64 v[110:111], v[110:111], v[64:65], v[66:67]
	v_fma_f64 v[116:117], v[116:117], v[56:57], -v[213:214]
	v_fma_f64 v[118:119], v[118:119], v[56:57], v[58:59]
	v_mul_f64 v[213:214], v[181:182], v[22:23]
	v_dual_mov_b32 v26, v203 :: v_dual_mov_b32 v27, v204
	s_waitcnt lgkmcnt(1)
	v_mul_f64 v[239:240], v[195:196], v[54:55]
	s_delay_alu instid0(VALU_DEP_2) | instskip(NEXT) | instid1(VALU_DEP_3)
	v_mov_b32_e32 v22, v27
	v_lshlrev_b64 v[203:204], 4, v[26:27]
	v_fma_f64 v[124:125], v[124:125], v[76:77], -v[215:216]
	v_fma_f64 v[76:77], v[126:127], v[76:77], v[78:79]
	v_mul_f64 v[78:79], v[185:186], v[38:39]
	v_mul_f64 v[126:127], v[183:184], v[38:39]
	;; [unrolled: 1-line block ×3, first 2 shown]
	v_fma_f64 v[132:133], v[132:133], v[72:73], -v[217:218]
	v_fma_f64 v[72:73], v[134:135], v[72:73], v[74:75]
	v_mul_f64 v[74:75], v[130:131], v[46:47]
	v_mul_f64 v[134:135], v[128:129], v[46:47]
	v_fma_f64 v[70:71], v[138:139], v[68:69], v[70:71]
	v_fma_f64 v[105:106], v[147:148], v[48:49], -v[221:222]
	v_fma_f64 v[138:139], v[155:156], v[40:41], -v[223:224]
	v_fma_f64 v[42:43], v[157:158], v[40:41], v[42:43]
	v_fma_f64 v[147:148], v[151:152], v[28:29], -v[225:226]
	v_fma_f64 v[30:31], v[153:154], v[28:29], v[30:31]
	v_fma_f64 v[151:152], v[161:162], v[24:25], v[229:230]
	v_fma_f64 v[153:154], v[163:164], v[12:13], -v[209:210]
	v_fma_f64 v[12:13], v[165:166], v[12:13], v[14:15]
	v_fma_f64 v[155:156], v[171:172], v[0:1], -v[231:232]
	v_fma_f64 v[157:158], v[173:174], v[0:1], v[2:3]
	v_fma_f64 v[161:162], v[177:178], v[4:5], v[6:7]
	;; [unrolled: 1-line block ×4, first 2 shown]
	scratch_store_b64 off, v[21:22], off    ; 8-byte Folded Spill
	v_mul_f64 v[217:218], v[197:198], v[54:55]
	v_fma_f64 v[50:51], v[149:150], v[48:49], v[50:51]
	ds_load_b128 v[46:49], v143 offset:1440
	ds_load_b128 v[54:57], v143 offset:2880
	;; [unrolled: 1-line block ×4, first 2 shown]
	v_mul_f64 v[34:35], v[191:192], v[34:35]
	v_fma_f64 v[136:137], v[136:137], v[68:69], -v[219:220]
	v_fma_f64 v[149:150], v[159:160], v[24:25], -v[227:228]
	;; [unrolled: 1-line block ×3, first 2 shown]
	v_fma_f64 v[2:3], v[169:170], v[16:17], v[18:19]
	v_fma_f64 v[159:160], v[175:176], v[4:5], -v[233:234]
	v_fma_f64 v[4:5], v[179:180], v[20:21], -v[213:214]
	;; [unrolled: 1-line block ×3, first 2 shown]
	ds_load_b128 v[26:29], v143 offset:7200
	ds_load_b128 v[62:65], v143 offset:8640
	;; [unrolled: 1-line block ×4, first 2 shown]
	v_add_f64 v[18:19], v[108:109], v[112:113]
	v_fma_f64 v[8:9], v[183:184], v[36:37], -v[78:79]
	v_fma_f64 v[10:11], v[185:186], v[36:37], v[126:127]
	v_fma_f64 v[78:79], v[191:192], v[32:33], -v[215:216]
	s_waitcnt lgkmcnt(8)
	v_add_f64 v[36:37], v[201:202], v[110:111]
	v_add_f64 v[126:127], v[116:117], v[124:125]
	v_fma_f64 v[14:15], v[128:129], v[44:45], -v[74:75]
	v_fma_f64 v[16:17], v[130:131], v[44:45], v[134:135]
	v_add_f64 v[74:75], v[199:200], v[108:109]
	v_add_f64 v[128:129], v[118:119], v[76:77]
	s_waitcnt lgkmcnt(7)
	v_add_f64 v[130:131], v[48:49], v[118:119]
	v_add_f64 v[134:135], v[46:47], v[116:117]
	v_add_f64 v[167:168], v[72:73], v[70:71]
	s_waitcnt lgkmcnt(4)
	v_add_f64 v[185:186], v[60:61], v[30:31]
	v_add_f64 v[183:184], v[30:31], v[151:152]
	v_add_f64 v[189:190], v[30:31], -v[151:152]
	v_add_f64 v[108:109], v[108:109], -v[112:113]
	v_add_f64 v[30:31], v[153:154], v[155:156]
	v_add_f64 v[191:192], v[12:13], v[157:158]
	v_add_f64 v[118:119], v[118:119], -v[76:77]
	v_add_f64 v[116:117], v[116:117], -v[124:125]
	v_add_f64 v[223:224], v[6:7], v[163:164]
	v_add_f64 v[171:172], v[54:55], v[132:133]
	v_fma_f64 v[44:45], v[195:196], v[52:53], -v[217:218]
	v_fma_f64 v[52:53], v[197:198], v[52:53], v[239:240]
	v_add_f64 v[175:176], v[50:51], v[42:43]
	v_add_f64 v[177:178], v[40:41], v[50:51]
	v_fma_f64 v[34:35], v[193:194], v[32:33], v[34:35]
	v_add_f64 v[32:33], v[110:111], v[114:115]
	v_add_f64 v[110:111], v[110:111], -v[114:115]
	v_add_f64 v[165:166], v[132:133], v[136:137]
	v_add_f64 v[132:133], v[132:133], -v[136:137]
	v_add_f64 v[179:180], v[38:39], v[105:106]
	v_add_f64 v[181:182], v[50:51], -v[42:43]
	v_add_f64 v[50:51], v[147:148], v[149:150]
	s_waitcnt lgkmcnt(3)
	v_add_f64 v[195:196], v[26:27], v[153:154]
	v_add_f64 v[197:198], v[12:13], -v[157:158]
	v_add_f64 v[153:154], v[153:154], -v[155:156]
	v_add_f64 v[209:210], v[0:1], v[159:160]
	v_add_f64 v[211:212], v[2:3], v[161:162]
	s_waitcnt lgkmcnt(2)
	v_add_f64 v[213:214], v[64:65], v[2:3]
	v_add_f64 v[215:216], v[62:63], v[0:1]
	v_add_f64 v[217:218], v[2:3], -v[161:162]
	v_add_f64 v[219:220], v[0:1], -v[159:160]
	v_add_f64 v[221:222], v[4:5], v[20:21]
	s_waitcnt lgkmcnt(1)
	v_add_f64 v[225:226], v[24:25], v[6:7]
	v_add_f64 v[227:228], v[22:23], v[4:5]
	v_add_f64 v[229:230], v[6:7], -v[163:164]
	v_add_f64 v[231:232], v[4:5], -v[20:21]
	v_add_f64 v[249:250], v[122:123], v[16:17]
	v_add_f64 v[2:3], v[36:37], v[114:115]
	;; [unrolled: 1-line block ×3, first 2 shown]
	v_fma_f64 v[74:75], v[126:127], -0.5, v[46:47]
	v_fma_f64 v[112:113], v[128:129], -0.5, v[48:49]
	v_add_f64 v[6:7], v[130:131], v[76:77]
	v_add_f64 v[4:5], v[134:135], v[124:125]
	v_fma_f64 v[114:115], v[167:168], -0.5, v[56:57]
	v_fma_f64 v[130:131], v[30:31], -0.5, v[26:27]
	;; [unrolled: 1-line block ×4, first 2 shown]
	v_add_f64 v[169:170], v[56:57], v[72:73]
	v_add_f64 v[173:174], v[105:106], v[138:139]
	v_add_f64 v[105:106], v[105:106], -v[138:139]
	v_add_f64 v[193:194], v[28:29], v[12:13]
	v_add_f64 v[247:248], v[16:17], v[52:53]
	v_add_f64 v[253:254], v[16:17], -v[52:53]
	v_fma_f64 v[124:125], v[175:176], -0.5, v[40:41]
	v_fma_f64 v[128:129], v[183:184], -0.5, v[60:61]
	;; [unrolled: 1-line block ×3, first 2 shown]
	v_add_f64 v[187:188], v[58:59], v[147:148]
	v_add_f64 v[12:13], v[179:180], v[138:139]
	;; [unrolled: 1-line block ×3, first 2 shown]
	v_fma_f64 v[126:127], v[50:51], -0.5, v[58:59]
	v_add_f64 v[235:236], v[10:11], v[34:35]
	s_waitcnt lgkmcnt(0)
	v_add_f64 v[237:238], v[68:69], v[10:11]
	v_add_f64 v[239:240], v[66:67], v[8:9]
	;; [unrolled: 1-line block ×3, first 2 shown]
	v_fma_f64 v[138:139], v[211:212], -0.5, v[64:65]
	v_fma_f64 v[199:200], v[18:19], -0.5, v[199:200]
	;; [unrolled: 1-line block ×3, first 2 shown]
	v_add_f64 v[251:252], v[120:121], v[14:15]
	v_add_f64 v[72:73], v[72:73], -v[70:71]
	v_add_f64 v[241:242], v[10:11], -v[34:35]
	;; [unrolled: 1-line block ×4, first 2 shown]
	v_add_f64 v[8:9], v[171:172], v[136:137]
	v_fma_f64 v[136:137], v[209:210], -0.5, v[62:63]
	v_add_f64 v[40:41], v[249:250], v[52:53]
	v_add_f64 v[18:19], v[185:186], v[151:152]
	;; [unrolled: 1-line block ×3, first 2 shown]
	v_fma_f64 v[50:51], v[118:119], s[2:3], v[74:75]
	v_fma_f64 v[54:55], v[118:119], s[6:7], v[74:75]
	;; [unrolled: 1-line block ×12, first 2 shown]
	scratch_load_b32 v25, off, off offset:16 ; 4-byte Folded Reload
	v_add_f64 v[10:11], v[169:170], v[70:71]
	v_fma_f64 v[70:71], v[173:174], -0.5, v[38:39]
	v_add_f64 v[102:103], v[14:15], -v[44:45]
	v_add_f64 v[28:29], v[193:194], v[157:158]
	v_add_f64 v[16:17], v[187:188], v[149:150]
	v_fma_f64 v[149:150], v[221:222], -0.5, v[22:23]
	v_fma_f64 v[151:152], v[233:234], -0.5, v[66:67]
	v_fma_f64 v[157:158], v[247:248], -0.5, v[122:123]
	v_fma_f64 v[155:156], v[235:236], -0.5, v[68:69]
	v_add_f64 v[36:37], v[237:238], v[34:35]
	v_add_f64 v[34:35], v[239:240], v[78:79]
	v_fma_f64 v[78:79], v[245:246], -0.5, v[120:121]
	v_add_f64 v[14:15], v[177:178], v[42:43]
	v_fma_f64 v[46:47], v[110:111], s[6:7], v[199:200]
	v_fma_f64 v[48:49], v[108:109], s[2:3], v[201:202]
	v_add_f64 v[38:39], v[251:252], v[44:45]
	v_fma_f64 v[42:43], v[110:111], s[2:3], v[199:200]
	v_fma_f64 v[44:45], v[108:109], s[6:7], v[201:202]
	;; [unrolled: 1-line block ×10, first 2 shown]
	v_add_f64 v[32:33], v[213:214], v[161:162]
	v_add_f64 v[30:31], v[215:216], v[159:160]
	v_fma_f64 v[120:121], v[217:218], s[2:3], v[136:137]
	v_fma_f64 v[122:123], v[219:220], s[6:7], v[138:139]
	;; [unrolled: 1-line block ×4, first 2 shown]
	v_add_f64 v[22:23], v[225:226], v[163:164]
	v_add_f64 v[20:21], v[227:228], v[20:21]
	v_lshl_add_u32 v24, v140, 4, 0
	s_waitcnt vmcnt(0)
	s_waitcnt_vscnt null, 0x0
	s_barrier
	buffer_gl0_inv
	v_fma_f64 v[66:67], v[181:182], s[2:3], v[70:71]
	v_fma_f64 v[70:71], v[181:182], s[6:7], v[70:71]
	;; [unrolled: 1-line block ×12, first 2 shown]
	v_lshl_add_u32 v102, v104, 4, 0
	v_add_co_u32 v78, s0, 0x3000, v255
	s_delay_alu instid0(VALU_DEP_1)
	v_add_co_ci_u32_e64 v79, s0, 0, v80, s0
	v_lshl_add_u32 v25, v25, 4, 0
	ds_store_b128 v143, v[0:3]
	ds_store_b128 v143, v[4:7] offset:1440
	ds_store_b128 v143, v[46:49] offset:9600
	ds_store_b128 v143, v[54:57] offset:11040
	ds_store_b128 v143, v[42:45] offset:4800
	ds_store_b128 v143, v[8:11] offset:2880
	ds_store_b128 v143, v[50:53] offset:6240
	ds_store_b128 v143, v[58:61] offset:7680
	ds_store_b128 v143, v[62:65] offset:12480
	ds_store_b128 v107, v[12:15]
	ds_store_b128 v107, v[66:69] offset:4800
	ds_store_b128 v107, v[70:73] offset:9600
	ds_store_b128 v143, v[16:19] offset:15360
	ds_store_b128 v143, v[26:29] offset:16800
	ds_store_b128 v143, v[74:77] offset:20160
	ds_store_b128 v143, v[112:115] offset:21600
	ds_store_b128 v143, v[108:111] offset:24960
	ds_store_b128 v143, v[116:119] offset:26400
	;; [unrolled: 9-line block ×3, first 2 shown]
	ds_store_b128 v102, v[38:41] offset:28800
	ds_store_b128 v102, v[151:154] offset:33600
	;; [unrolled: 1-line block ×3, first 2 shown]
	s_waitcnt lgkmcnt(0)
	s_barrier
	buffer_gl0_inv
	s_clause 0x1
	global_load_b128 v[147:150], v[82:83], off offset:2064
	global_load_b128 v[151:154], v[144:145], off offset:16
	scratch_load_b64 v[2:3], off, off offset:20 ; 8-byte Folded Reload
	v_add_co_u32 v0, s0, 0x3810, v255
	s_delay_alu instid0(VALU_DEP_1)
	v_add_co_ci_u32_e64 v1, s0, 0, v80, s0
	s_clause 0xd
	global_load_b128 v[155:158], v[84:85], off offset:2064
	global_load_b128 v[159:162], v[88:89], off offset:16
	global_load_b128 v[163:166], v[86:87], off offset:2064
	global_load_b128 v[40:43], v[90:91], off offset:16
	global_load_b128 v[32:35], v[92:93], off offset:2064
	global_load_b128 v[24:27], v[96:97], off offset:16
	global_load_b128 v[36:39], v[94:95], off offset:2064
	global_load_b128 v[28:31], v[98:99], off offset:16
	global_load_b128 v[20:23], v[100:101], off offset:2064
	global_load_b128 v[16:19], v[141:142], off offset:16
	global_load_b128 v[56:59], v[205:206], off offset:2064
	global_load_b128 v[52:55], v[207:208], off offset:16
	global_load_b128 v[48:51], v[78:79], off offset:2064
	global_load_b128 v[44:47], v[0:1], off offset:16
	s_waitcnt vmcnt(14)
	v_add_co_u32 v4, s0, s4, v2
	s_delay_alu instid0(VALU_DEP_1) | instskip(NEXT) | instid1(VALU_DEP_2)
	v_add_co_ci_u32_e64 v5, s0, s5, v3, s0
	v_add_co_u32 v2, s0, 0x3000, v4
	s_delay_alu instid0(VALU_DEP_1) | instskip(SKIP_1) | instid1(VALU_DEP_1)
	v_add_co_ci_u32_e64 v3, s0, 0, v5, s0
	v_add_co_u32 v4, s0, 0x3810, v4
	v_add_co_ci_u32_e64 v5, s0, 0, v5, s0
	v_add_co_u32 v6, s0, s4, v203
	s_delay_alu instid0(VALU_DEP_1) | instskip(SKIP_4) | instid1(VALU_DEP_1)
	v_add_co_ci_u32_e64 v7, s0, s5, v204, s0
	s_clause 0x1
	global_load_b128 v[64:67], v[2:3], off offset:2064
	global_load_b128 v[60:63], v[4:5], off offset:16
	v_add_co_u32 v0, s0, 0x3000, v6
	v_add_co_ci_u32_e64 v1, s0, 0, v7, s0
	v_add_co_u32 v2, s0, 0x3810, v6
	s_delay_alu instid0(VALU_DEP_1)
	v_add_co_ci_u32_e64 v3, s0, 0, v7, s0
	s_clause 0x1
	global_load_b128 v[68:71], v[0:1], off offset:2064
	global_load_b128 v[72:75], v[2:3], off offset:16
	ds_load_b128 v[167:170], v143 offset:14400
	ds_load_b128 v[0:3], v143 offset:12960
	;; [unrolled: 1-line block ×21, first 2 shown]
	ds_load_b128 v[4:7], v143
	ds_load_b128 v[8:11], v143 offset:1440
	ds_load_b128 v[12:15], v143 offset:2880
	;; [unrolled: 1-line block ×4, first 2 shown]
	s_waitcnt lgkmcnt(25)
	v_mul_f64 v[141:142], v[169:170], v[149:150]
	v_mul_f64 v[144:145], v[167:168], v[149:150]
	s_waitcnt lgkmcnt(23)
	v_mul_f64 v[149:150], v[173:174], v[153:154]
	v_mul_f64 v[153:154], v[171:172], v[153:154]
	s_waitcnt vmcnt(17) lgkmcnt(21)
	v_mul_f64 v[191:192], v[177:178], v[157:158]
	v_mul_f64 v[157:158], v[175:176], v[157:158]
	s_waitcnt vmcnt(16) lgkmcnt(19)
	v_mul_f64 v[193:194], v[185:186], v[161:162]
	v_mul_f64 v[161:162], v[183:184], v[161:162]
	s_waitcnt vmcnt(15)
	v_mul_f64 v[195:196], v[181:182], v[165:166]
	v_mul_f64 v[165:166], v[179:180], v[165:166]
	s_waitcnt vmcnt(14) lgkmcnt(18)
	v_mul_f64 v[197:198], v[130:131], v[42:43]
	v_mul_f64 v[42:43], v[128:129], v[42:43]
	s_waitcnt vmcnt(13) lgkmcnt(17)
	v_mul_f64 v[199:200], v[122:123], v[34:35]
	v_mul_f64 v[34:35], v[120:121], v[34:35]
	s_waitcnt vmcnt(12) lgkmcnt(15)
	v_mul_f64 v[201:202], v[126:127], v[26:27]
	v_mul_f64 v[26:27], v[124:125], v[26:27]
	s_waitcnt vmcnt(11)
	v_mul_f64 v[203:204], v[114:115], v[38:39]
	v_mul_f64 v[38:39], v[112:113], v[38:39]
	s_waitcnt vmcnt(10) lgkmcnt(14)
	;; [unrolled: 12-line block ×3, first 2 shown]
	v_mul_f64 v[213:214], v[98:99], v[54:55]
	v_mul_f64 v[54:55], v[96:97], v[54:55]
	s_waitcnt vmcnt(5) lgkmcnt(9)
	v_mul_f64 v[215:216], v[90:91], v[50:51]
	v_mul_f64 v[50:51], v[88:89], v[50:51]
	s_waitcnt vmcnt(4) lgkmcnt(7)
	v_mul_f64 v[217:218], v[102:103], v[46:47]
	v_mul_f64 v[46:47], v[100:101], v[46:47]
	v_fma_f64 v[141:142], v[167:168], v[147:148], -v[141:142]
	v_fma_f64 v[144:145], v[169:170], v[147:148], v[144:145]
	v_fma_f64 v[171:172], v[171:172], v[151:152], -v[149:150]
	v_fma_f64 v[173:174], v[173:174], v[151:152], v[153:154]
	;; [unrolled: 2-line block ×16, first 2 shown]
	ds_load_b128 v[147:150], v143 offset:7200
	ds_load_b128 v[151:154], v143 offset:8640
	;; [unrolled: 1-line block ×4, first 2 shown]
	s_waitcnt vmcnt(0) lgkmcnt(0)
	s_barrier
	buffer_gl0_inv
	v_add_f64 v[112:113], v[141:142], -v[171:172]
	v_add_f64 v[90:91], v[175:176], -v[183:184]
	;; [unrolled: 1-line block ×3, first 2 shown]
	v_add_f64 v[98:99], v[12:13], v[179:180]
	v_add_f64 v[96:97], v[14:15], v[163:164]
	;; [unrolled: 1-line block ×8, first 2 shown]
	v_add_f64 v[118:119], v[32:33], -v[24:25]
	v_add_f64 v[122:123], v[138:139], v[36:37]
	v_add_f64 v[32:33], v[26:27], v[38:39]
	;; [unrolled: 1-line block ×4, first 2 shown]
	v_add_f64 v[126:127], v[36:37], -v[28:29]
	v_add_f64 v[130:131], v[26:27], -v[38:39]
	v_add_f64 v[26:27], v[30:31], v[104:105]
	v_add_f64 v[36:37], v[20:21], v[106:107]
	v_add_f64 v[165:166], v[30:31], -v[104:105]
	v_add_f64 v[100:101], v[163:164], -v[40:41]
	;; [unrolled: 1-line block ×3, first 2 shown]
	v_add_f64 v[191:192], v[155:156], v[22:23]
	v_add_f64 v[42:43], v[42:43], -v[34:35]
	v_add_f64 v[181:182], v[22:23], v[50:51]
	v_add_f64 v[193:194], v[48:49], -v[44:45]
	v_add_f64 v[163:164], v[20:21], -v[106:107]
	;; [unrolled: 1-line block ×4, first 2 shown]
	v_add_f64 v[22:23], v[122:123], v[28:29]
	v_mul_f64 v[167:168], v[82:83], v[66:67]
	v_mul_f64 v[66:67], v[80:81], v[66:67]
	v_mul_f64 v[169:170], v[86:87], v[62:63]
	v_mul_f64 v[62:63], v[84:85], v[62:63]
	v_mul_f64 v[219:220], v[78:79], v[70:71]
	v_mul_f64 v[70:71], v[76:77], v[70:71]
	v_mul_f64 v[221:222], v[189:190], v[74:75]
	v_mul_f64 v[74:75], v[187:188], v[74:75]
	v_fma_f64 v[46:47], v[80:81], v[64:65], -v[167:168]
	v_fma_f64 v[54:55], v[82:83], v[64:65], v[66:67]
	v_fma_f64 v[58:59], v[84:85], v[60:61], -v[169:170]
	v_fma_f64 v[60:61], v[86:87], v[60:61], v[62:63]
	v_add_f64 v[80:81], v[175:176], v[183:184]
	v_add_f64 v[82:83], v[177:178], v[185:186]
	;; [unrolled: 1-line block ×7, first 2 shown]
	v_fma_f64 v[62:63], v[76:77], v[68:69], -v[219:220]
	v_fma_f64 v[64:65], v[78:79], v[68:69], v[70:71]
	v_fma_f64 v[66:67], v[187:188], v[72:73], -v[221:222]
	v_fma_f64 v[68:69], v[189:190], v[72:73], v[74:75]
	v_add_f64 v[70:71], v[141:142], v[171:172]
	v_add_f64 v[72:73], v[144:145], v[173:174]
	;; [unrolled: 1-line block ×4, first 2 shown]
	v_add_f64 v[78:79], v[144:145], -v[173:174]
	v_add_f64 v[144:145], v[147:148], v[30:31]
	v_add_f64 v[30:31], v[16:17], v[56:57]
	;; [unrolled: 1-line block ×5, first 2 shown]
	v_add_f64 v[177:178], v[18:19], -v[52:53]
	v_add_f64 v[18:19], v[114:115], v[24:25]
	v_add_f64 v[16:17], v[116:117], v[34:35]
	;; [unrolled: 1-line block ×7, first 2 shown]
	v_add_f64 v[203:204], v[54:55], -v[60:61]
	v_add_f64 v[46:47], v[46:47], -v[58:59]
	v_add_f64 v[28:29], v[175:176], v[56:57]
	v_add_f64 v[209:210], v[0:1], v[62:63]
	;; [unrolled: 1-line block ×5, first 2 shown]
	v_add_f64 v[211:212], v[64:65], -v[68:69]
	v_add_f64 v[213:214], v[62:63], -v[66:67]
	v_fma_f64 v[62:63], v[70:71], -0.5, v[4:5]
	v_fma_f64 v[64:65], v[80:81], -0.5, v[8:9]
	;; [unrolled: 1-line block ×4, first 2 shown]
	v_add_f64 v[6:7], v[74:75], v[173:174]
	v_fma_f64 v[72:73], v[92:93], -0.5, v[12:13]
	v_fma_f64 v[74:75], v[94:95], -0.5, v[14:15]
	v_add_f64 v[4:5], v[76:77], v[171:172]
	v_fma_f64 v[76:77], v[108:109], -0.5, v[132:133]
	v_fma_f64 v[80:81], v[110:111], -0.5, v[134:135]
	;; [unrolled: 3-line block ×5, first 2 shown]
	v_add_f64 v[12:13], v[98:99], v[128:129]
	v_add_f64 v[24:25], v[144:145], v[104:105]
	v_fma_f64 v[98:99], v[181:182], -0.5, v[155:156]
	v_fma_f64 v[104:105], v[187:188], -0.5, v[157:158]
	;; [unrolled: 1-line block ×4, first 2 shown]
	v_add_f64 v[26:27], v[141:142], v[106:107]
	v_add_f64 v[30:31], v[169:170], v[52:53]
	;; [unrolled: 1-line block ×6, first 2 shown]
	v_fma_f64 v[116:117], v[54:55], -0.5, v[0:1]
	v_fma_f64 v[120:121], v[205:206], -0.5, v[2:3]
	v_add_f64 v[0:1], v[209:210], v[66:67]
	v_add_f64 v[2:3], v[207:208], v[68:69]
	v_fma_f64 v[40:41], v[78:79], s[2:3], v[62:63]
	v_fma_f64 v[48:49], v[88:89], s[2:3], v[64:65]
	;; [unrolled: 1-line block ×40, first 2 shown]
	ds_store_b128 v143, v[8:11] offset:1440
	ds_store_b128 v143, v[12:15] offset:2880
	;; [unrolled: 1-line block ×28, first 2 shown]
	ds_store_b128 v143, v[4:7]
	ds_store_b128 v143, v[116:119] offset:41760
	s_waitcnt lgkmcnt(0)
	s_barrier
	buffer_gl0_inv
	s_and_saveexec_b32 s0, vcc_lo
	s_cbranch_execz .LBB0_19
; %bb.18:
	s_clause 0x2
	scratch_load_b64 v[0:1], off, off offset:28
	scratch_load_b64 v[6:7], off, off offset:8
	scratch_load_b64 v[38:39], off, off
	s_waitcnt vmcnt(2)
	v_mov_b32_e32 v34, v0
	s_waitcnt vmcnt(1)
	v_add_co_u32 v36, vcc_lo, s8, v6
	s_waitcnt vmcnt(0)
	v_mov_b32_e32 v35, v39
	v_add_co_ci_u32_e32 v37, vcc_lo, s9, v7, vcc_lo
	v_add_nc_u32_e32 v38, 0x5a, v34
	v_lshl_add_u32 v32, v34, 4, 0
	s_delay_alu instid0(VALU_DEP_4) | instskip(NEXT) | instid1(VALU_DEP_3)
	v_lshlrev_b64 v[4:5], 4, v[34:35]
	v_lshlrev_b64 v[16:17], 4, v[38:39]
	v_add_nc_u32_e32 v38, 0xb4, v34
	ds_load_b128 v[0:3], v32
	v_add_co_u32 v20, vcc_lo, v36, v4
	v_add_co_ci_u32_e32 v21, vcc_lo, v37, v5, vcc_lo
	ds_load_b128 v[4:7], v32 offset:1440
	ds_load_b128 v[8:11], v32 offset:2880
	;; [unrolled: 1-line block ×3, first 2 shown]
	v_lshlrev_b64 v[18:19], 4, v[38:39]
	v_add_nc_u32_e32 v38, 0x10e, v34
	v_add_co_u32 v22, vcc_lo, v36, v16
	v_add_co_ci_u32_e32 v23, vcc_lo, v37, v17, vcc_lo
	s_delay_alu instid0(VALU_DEP_3) | instskip(SKIP_3) | instid1(VALU_DEP_4)
	v_lshlrev_b64 v[16:17], 4, v[38:39]
	v_add_nc_u32_e32 v38, 0x168, v34
	v_add_co_u32 v24, vcc_lo, v36, v18
	v_add_co_ci_u32_e32 v25, vcc_lo, v37, v19, vcc_lo
	v_add_co_u32 v26, vcc_lo, v36, v16
	s_delay_alu instid0(VALU_DEP_4)
	v_lshlrev_b64 v[28:29], 4, v[38:39]
	v_add_nc_u32_e32 v38, 0x1c2, v34
	v_add_co_ci_u32_e32 v27, vcc_lo, v37, v17, vcc_lo
	ds_load_b128 v[16:19], v32 offset:41760
	s_waitcnt lgkmcnt(4)
	global_store_b128 v[20:21], v[0:3], off
	s_waitcnt lgkmcnt(3)
	global_store_b128 v[22:23], v[4:7], off
	v_lshlrev_b64 v[20:21], 4, v[38:39]
	v_add_nc_u32_e32 v38, 0x21c, v34
	ds_load_b128 v[0:3], v32 offset:5760
	s_waitcnt lgkmcnt(3)
	global_store_b128 v[24:25], v[8:11], off
	s_waitcnt lgkmcnt(2)
	global_store_b128 v[26:27], v[12:15], off
	ds_load_b128 v[4:7], v32 offset:7200
	ds_load_b128 v[8:11], v32 offset:8640
	;; [unrolled: 1-line block ×3, first 2 shown]
	v_lshlrev_b64 v[24:25], 4, v[38:39]
	v_add_nc_u32_e32 v38, 0x276, v34
	v_add_co_u32 v22, vcc_lo, v36, v28
	v_add_co_ci_u32_e32 v23, vcc_lo, v37, v29, vcc_lo
	v_add_co_u32 v20, vcc_lo, v36, v20
	s_delay_alu instid0(VALU_DEP_4)
	v_lshlrev_b64 v[26:27], 4, v[38:39]
	v_add_nc_u32_e32 v38, 0x2d0, v34
	v_add_co_ci_u32_e32 v21, vcc_lo, v37, v21, vcc_lo
	v_add_co_u32 v24, vcc_lo, v36, v24
	v_add_co_ci_u32_e32 v25, vcc_lo, v37, v25, vcc_lo
	v_add_co_u32 v26, vcc_lo, v36, v26
	v_lshlrev_b64 v[28:29], 4, v[38:39]
	v_add_nc_u32_e32 v38, 0x32a, v34
	v_add_co_ci_u32_e32 v27, vcc_lo, v37, v27, vcc_lo
	s_waitcnt lgkmcnt(3)
	global_store_b128 v[22:23], v[0:3], off
	s_waitcnt lgkmcnt(2)
	global_store_b128 v[20:21], v[4:7], off
	ds_load_b128 v[0:3], v32 offset:11520
	v_lshlrev_b64 v[20:21], 4, v[38:39]
	v_add_nc_u32_e32 v38, 0x384, v34
	s_waitcnt lgkmcnt(2)
	global_store_b128 v[24:25], v[8:11], off
	s_waitcnt lgkmcnt(1)
	global_store_b128 v[26:27], v[12:15], off
	ds_load_b128 v[4:7], v32 offset:12960
	ds_load_b128 v[8:11], v32 offset:14400
	ds_load_b128 v[12:15], v32 offset:15840
	v_add_co_u32 v22, vcc_lo, v36, v28
	v_lshlrev_b64 v[24:25], 4, v[38:39]
	v_add_nc_u32_e32 v38, 0x3de, v34
	v_add_co_ci_u32_e32 v23, vcc_lo, v37, v29, vcc_lo
	v_add_co_u32 v20, vcc_lo, v36, v20
	s_delay_alu instid0(VALU_DEP_3)
	v_lshlrev_b64 v[26:27], 4, v[38:39]
	v_add_nc_u32_e32 v38, 0x438, v34
	v_add_co_ci_u32_e32 v21, vcc_lo, v37, v21, vcc_lo
	v_add_co_u32 v24, vcc_lo, v36, v24
	v_add_co_ci_u32_e32 v25, vcc_lo, v37, v25, vcc_lo
	v_add_co_u32 v26, vcc_lo, v36, v26
	v_lshlrev_b64 v[28:29], 4, v[38:39]
	v_add_nc_u32_e32 v38, 0x492, v34
	v_add_co_ci_u32_e32 v27, vcc_lo, v37, v27, vcc_lo
	s_waitcnt lgkmcnt(3)
	global_store_b128 v[22:23], v[0:3], off
	s_waitcnt lgkmcnt(2)
	global_store_b128 v[20:21], v[4:7], off
	ds_load_b128 v[0:3], v32 offset:17280
	v_lshlrev_b64 v[20:21], 4, v[38:39]
	v_add_nc_u32_e32 v38, 0x4ec, v34
	s_waitcnt lgkmcnt(2)
	global_store_b128 v[24:25], v[8:11], off
	s_waitcnt lgkmcnt(1)
	global_store_b128 v[26:27], v[12:15], off
	ds_load_b128 v[4:7], v32 offset:18720
	ds_load_b128 v[8:11], v32 offset:20160
	ds_load_b128 v[12:15], v32 offset:21600
	v_add_co_u32 v22, vcc_lo, v36, v28
	v_lshlrev_b64 v[24:25], 4, v[38:39]
	v_add_nc_u32_e32 v38, 0x546, v34
	v_add_co_ci_u32_e32 v23, vcc_lo, v37, v29, vcc_lo
	v_add_co_u32 v20, vcc_lo, v36, v20
	s_delay_alu instid0(VALU_DEP_3)
	;; [unrolled: 29-line block ×3, first 2 shown]
	v_lshlrev_b64 v[26:27], 4, v[38:39]
	v_add_co_ci_u32_e32 v21, vcc_lo, v37, v21, vcc_lo
	v_add_nc_u32_e32 v38, 0x708, v34
	v_add_co_u32 v24, vcc_lo, v36, v24
	v_add_co_ci_u32_e32 v25, vcc_lo, v37, v25, vcc_lo
	v_add_co_u32 v26, vcc_lo, v36, v26
	s_delay_alu instid0(VALU_DEP_4)
	v_lshlrev_b64 v[28:29], 4, v[38:39]
	v_add_nc_u32_e32 v38, 0x762, v34
	v_add_co_ci_u32_e32 v27, vcc_lo, v37, v27, vcc_lo
	s_waitcnt lgkmcnt(3)
	global_store_b128 v[22:23], v[0:3], off
	s_waitcnt lgkmcnt(2)
	global_store_b128 v[20:21], v[4:7], off
	ds_load_b128 v[0:3], v32 offset:28800
	s_waitcnt lgkmcnt(2)
	global_store_b128 v[24:25], v[8:11], off
	s_waitcnt lgkmcnt(1)
	global_store_b128 v[26:27], v[12:15], off
	v_lshlrev_b64 v[20:21], 4, v[38:39]
	v_add_nc_u32_e32 v38, 0x7bc, v34
	ds_load_b128 v[4:7], v32 offset:30240
	ds_load_b128 v[8:11], v32 offset:31680
	;; [unrolled: 1-line block ×3, first 2 shown]
	v_add_co_u32 v22, vcc_lo, v36, v28
	v_lshlrev_b64 v[24:25], 4, v[38:39]
	v_add_nc_u32_e32 v38, 0x816, v34
	v_add_co_ci_u32_e32 v23, vcc_lo, v37, v29, vcc_lo
	v_add_co_u32 v20, vcc_lo, v36, v20
	s_delay_alu instid0(VALU_DEP_3) | instskip(SKIP_3) | instid1(VALU_DEP_3)
	v_lshlrev_b64 v[26:27], 4, v[38:39]
	v_add_nc_u32_e32 v38, 0x870, v34
	v_add_co_ci_u32_e32 v21, vcc_lo, v37, v21, vcc_lo
	v_add_co_u32 v24, vcc_lo, v36, v24
	v_lshlrev_b64 v[28:29], 4, v[38:39]
	v_add_nc_u32_e32 v38, 0x8ca, v34
	v_add_co_ci_u32_e32 v25, vcc_lo, v37, v25, vcc_lo
	v_add_co_u32 v26, vcc_lo, v36, v26
	s_waitcnt lgkmcnt(3)
	global_store_b128 v[22:23], v[0:3], off
	s_waitcnt lgkmcnt(2)
	global_store_b128 v[20:21], v[4:7], off
	v_lshlrev_b64 v[4:5], 4, v[38:39]
	v_add_nc_u32_e32 v38, 0x924, v34
	v_add_co_ci_u32_e32 v27, vcc_lo, v37, v27, vcc_lo
	ds_load_b128 v[0:3], v32 offset:34560
	s_waitcnt lgkmcnt(2)
	global_store_b128 v[24:25], v[8:11], off
	s_waitcnt lgkmcnt(1)
	global_store_b128 v[26:27], v[12:15], off
	v_add_co_u32 v24, vcc_lo, v36, v28
	v_lshlrev_b64 v[12:13], 4, v[38:39]
	v_add_co_ci_u32_e32 v25, vcc_lo, v37, v29, vcc_lo
	v_add_co_u32 v26, vcc_lo, v36, v4
	v_add_nc_u32_e32 v38, 0x97e, v34
	v_add_co_ci_u32_e32 v27, vcc_lo, v37, v5, vcc_lo
	v_add_co_u32 v30, vcc_lo, v36, v12
	ds_load_b128 v[4:7], v32 offset:36000
	ds_load_b128 v[8:11], v32 offset:37440
	v_add_co_ci_u32_e32 v31, vcc_lo, v37, v13, vcc_lo
	ds_load_b128 v[12:15], v32 offset:38880
	ds_load_b128 v[20:23], v32 offset:40320
	v_lshlrev_b64 v[28:29], 4, v[38:39]
	v_add_nc_u32_e32 v38, 0x9d8, v34
	s_delay_alu instid0(VALU_DEP_1) | instskip(SKIP_1) | instid1(VALU_DEP_4)
	v_lshlrev_b64 v[32:33], 4, v[38:39]
	v_add_nc_u32_e32 v38, 0xa32, v34
	v_add_co_u32 v28, vcc_lo, v36, v28
	v_add_co_ci_u32_e32 v29, vcc_lo, v37, v29, vcc_lo
	s_delay_alu instid0(VALU_DEP_3) | instskip(SKIP_2) | instid1(VALU_DEP_3)
	v_lshlrev_b64 v[34:35], 4, v[38:39]
	v_add_co_u32 v32, vcc_lo, v36, v32
	v_add_co_ci_u32_e32 v33, vcc_lo, v37, v33, vcc_lo
	v_add_co_u32 v34, vcc_lo, v36, v34
	s_delay_alu instid0(VALU_DEP_4)
	v_add_co_ci_u32_e32 v35, vcc_lo, v37, v35, vcc_lo
	s_waitcnt lgkmcnt(4)
	global_store_b128 v[24:25], v[0:3], off
	s_waitcnt lgkmcnt(3)
	global_store_b128 v[26:27], v[4:7], off
	s_waitcnt lgkmcnt(2)
	global_store_b128 v[30:31], v[8:11], off
	s_waitcnt lgkmcnt(1)
	global_store_b128 v[28:29], v[12:15], off
	s_waitcnt lgkmcnt(0)
	s_clause 0x1
	global_store_b128 v[32:33], v[20:23], off
	global_store_b128 v[34:35], v[16:19], off
.LBB0_19:
	s_nop 0
	s_sendmsg sendmsg(MSG_DEALLOC_VGPRS)
	s_endpgm
	.section	.rodata,"a",@progbits
	.p2align	6, 0x0
	.amdhsa_kernel fft_rtc_fwd_len2700_factors_3_10_10_3_3_wgs_90_tpt_90_halfLds_dp_ip_CI_unitstride_sbrr_C2R_dirReg
		.amdhsa_group_segment_fixed_size 0
		.amdhsa_private_segment_fixed_size 56
		.amdhsa_kernarg_size 88
		.amdhsa_user_sgpr_count 15
		.amdhsa_user_sgpr_dispatch_ptr 0
		.amdhsa_user_sgpr_queue_ptr 0
		.amdhsa_user_sgpr_kernarg_segment_ptr 1
		.amdhsa_user_sgpr_dispatch_id 0
		.amdhsa_user_sgpr_private_segment_size 0
		.amdhsa_wavefront_size32 1
		.amdhsa_uses_dynamic_stack 0
		.amdhsa_enable_private_segment 1
		.amdhsa_system_sgpr_workgroup_id_x 1
		.amdhsa_system_sgpr_workgroup_id_y 0
		.amdhsa_system_sgpr_workgroup_id_z 0
		.amdhsa_system_sgpr_workgroup_info 0
		.amdhsa_system_vgpr_workitem_id 0
		.amdhsa_next_free_vgpr 256
		.amdhsa_next_free_sgpr 22
		.amdhsa_reserve_vcc 1
		.amdhsa_float_round_mode_32 0
		.amdhsa_float_round_mode_16_64 0
		.amdhsa_float_denorm_mode_32 3
		.amdhsa_float_denorm_mode_16_64 3
		.amdhsa_dx10_clamp 1
		.amdhsa_ieee_mode 1
		.amdhsa_fp16_overflow 0
		.amdhsa_workgroup_processor_mode 1
		.amdhsa_memory_ordered 1
		.amdhsa_forward_progress 0
		.amdhsa_shared_vgpr_count 0
		.amdhsa_exception_fp_ieee_invalid_op 0
		.amdhsa_exception_fp_denorm_src 0
		.amdhsa_exception_fp_ieee_div_zero 0
		.amdhsa_exception_fp_ieee_overflow 0
		.amdhsa_exception_fp_ieee_underflow 0
		.amdhsa_exception_fp_ieee_inexact 0
		.amdhsa_exception_int_div_zero 0
	.end_amdhsa_kernel
	.text
.Lfunc_end0:
	.size	fft_rtc_fwd_len2700_factors_3_10_10_3_3_wgs_90_tpt_90_halfLds_dp_ip_CI_unitstride_sbrr_C2R_dirReg, .Lfunc_end0-fft_rtc_fwd_len2700_factors_3_10_10_3_3_wgs_90_tpt_90_halfLds_dp_ip_CI_unitstride_sbrr_C2R_dirReg
                                        ; -- End function
	.section	.AMDGPU.csdata,"",@progbits
; Kernel info:
; codeLenInByte = 26644
; NumSgprs: 24
; NumVgprs: 256
; ScratchSize: 56
; MemoryBound: 0
; FloatMode: 240
; IeeeMode: 1
; LDSByteSize: 0 bytes/workgroup (compile time only)
; SGPRBlocks: 2
; VGPRBlocks: 31
; NumSGPRsForWavesPerEU: 24
; NumVGPRsForWavesPerEU: 256
; Occupancy: 5
; WaveLimiterHint : 1
; COMPUTE_PGM_RSRC2:SCRATCH_EN: 1
; COMPUTE_PGM_RSRC2:USER_SGPR: 15
; COMPUTE_PGM_RSRC2:TRAP_HANDLER: 0
; COMPUTE_PGM_RSRC2:TGID_X_EN: 1
; COMPUTE_PGM_RSRC2:TGID_Y_EN: 0
; COMPUTE_PGM_RSRC2:TGID_Z_EN: 0
; COMPUTE_PGM_RSRC2:TIDIG_COMP_CNT: 0
	.text
	.p2alignl 7, 3214868480
	.fill 96, 4, 3214868480
	.type	__hip_cuid_78ff527b58f4bc6d,@object ; @__hip_cuid_78ff527b58f4bc6d
	.section	.bss,"aw",@nobits
	.globl	__hip_cuid_78ff527b58f4bc6d
__hip_cuid_78ff527b58f4bc6d:
	.byte	0                               ; 0x0
	.size	__hip_cuid_78ff527b58f4bc6d, 1

	.ident	"AMD clang version 19.0.0git (https://github.com/RadeonOpenCompute/llvm-project roc-6.4.0 25133 c7fe45cf4b819c5991fe208aaa96edf142730f1d)"
	.section	".note.GNU-stack","",@progbits
	.addrsig
	.addrsig_sym __hip_cuid_78ff527b58f4bc6d
	.amdgpu_metadata
---
amdhsa.kernels:
  - .args:
      - .actual_access:  read_only
        .address_space:  global
        .offset:         0
        .size:           8
        .value_kind:     global_buffer
      - .offset:         8
        .size:           8
        .value_kind:     by_value
      - .actual_access:  read_only
        .address_space:  global
        .offset:         16
        .size:           8
        .value_kind:     global_buffer
      - .actual_access:  read_only
        .address_space:  global
        .offset:         24
        .size:           8
        .value_kind:     global_buffer
      - .offset:         32
        .size:           8
        .value_kind:     by_value
      - .actual_access:  read_only
        .address_space:  global
        .offset:         40
        .size:           8
        .value_kind:     global_buffer
      - .actual_access:  read_only
        .address_space:  global
        .offset:         48
        .size:           8
        .value_kind:     global_buffer
      - .offset:         56
        .size:           4
        .value_kind:     by_value
      - .actual_access:  read_only
        .address_space:  global
        .offset:         64
        .size:           8
        .value_kind:     global_buffer
      - .actual_access:  read_only
        .address_space:  global
        .offset:         72
        .size:           8
        .value_kind:     global_buffer
      - .address_space:  global
        .offset:         80
        .size:           8
        .value_kind:     global_buffer
    .group_segment_fixed_size: 0
    .kernarg_segment_align: 8
    .kernarg_segment_size: 88
    .language:       OpenCL C
    .language_version:
      - 2
      - 0
    .max_flat_workgroup_size: 90
    .name:           fft_rtc_fwd_len2700_factors_3_10_10_3_3_wgs_90_tpt_90_halfLds_dp_ip_CI_unitstride_sbrr_C2R_dirReg
    .private_segment_fixed_size: 56
    .sgpr_count:     24
    .sgpr_spill_count: 0
    .symbol:         fft_rtc_fwd_len2700_factors_3_10_10_3_3_wgs_90_tpt_90_halfLds_dp_ip_CI_unitstride_sbrr_C2R_dirReg.kd
    .uniform_work_group_size: 1
    .uses_dynamic_stack: false
    .vgpr_count:     256
    .vgpr_spill_count: 18
    .wavefront_size: 32
    .workgroup_processor_mode: 1
amdhsa.target:   amdgcn-amd-amdhsa--gfx1100
amdhsa.version:
  - 1
  - 2
...

	.end_amdgpu_metadata
